;; amdgpu-corpus repo=ROCm/rocFFT kind=compiled arch=gfx1030 opt=O3
	.text
	.amdgcn_target "amdgcn-amd-amdhsa--gfx1030"
	.amdhsa_code_object_version 6
	.protected	fft_rtc_back_len945_factors_3_3_3_5_7_wgs_63_tpt_63_halfLds_half_ip_CI_sbrr_dirReg ; -- Begin function fft_rtc_back_len945_factors_3_3_3_5_7_wgs_63_tpt_63_halfLds_half_ip_CI_sbrr_dirReg
	.globl	fft_rtc_back_len945_factors_3_3_3_5_7_wgs_63_tpt_63_halfLds_half_ip_CI_sbrr_dirReg
	.p2align	8
	.type	fft_rtc_back_len945_factors_3_3_3_5_7_wgs_63_tpt_63_halfLds_half_ip_CI_sbrr_dirReg,@function
fft_rtc_back_len945_factors_3_3_3_5_7_wgs_63_tpt_63_halfLds_half_ip_CI_sbrr_dirReg: ; @fft_rtc_back_len945_factors_3_3_3_5_7_wgs_63_tpt_63_halfLds_half_ip_CI_sbrr_dirReg
; %bb.0:
	s_clause 0x2
	s_load_dwordx2 s[14:15], s[4:5], 0x18
	s_load_dwordx4 s[8:11], s[4:5], 0x0
	s_load_dwordx2 s[12:13], s[4:5], 0x50
	v_mul_u32_u24_e32 v1, 0x411, v0
	v_mov_b32_e32 v3, 0
	v_add_nc_u32_sdwa v5, s6, v1 dst_sel:DWORD dst_unused:UNUSED_PAD src0_sel:DWORD src1_sel:WORD_1
	v_mov_b32_e32 v1, 0
	v_mov_b32_e32 v6, v3
	v_mov_b32_e32 v2, 0
	s_waitcnt lgkmcnt(0)
	s_load_dwordx2 s[2:3], s[14:15], 0x0
	v_cmp_lt_u64_e64 s0, s[10:11], 2
	s_and_b32 vcc_lo, exec_lo, s0
	s_cbranch_vccnz .LBB0_8
; %bb.1:
	s_load_dwordx2 s[0:1], s[4:5], 0x10
	v_mov_b32_e32 v1, 0
	s_add_u32 s6, s14, 8
	v_mov_b32_e32 v2, 0
	s_addc_u32 s7, s15, 0
	s_mov_b64 s[18:19], 1
	s_waitcnt lgkmcnt(0)
	s_add_u32 s16, s0, 8
	s_addc_u32 s17, s1, 0
.LBB0_2:                                ; =>This Inner Loop Header: Depth=1
	s_load_dwordx2 s[20:21], s[16:17], 0x0
                                        ; implicit-def: $vgpr7_vgpr8
	s_mov_b32 s0, exec_lo
	s_waitcnt lgkmcnt(0)
	v_or_b32_e32 v4, s21, v6
	v_cmpx_ne_u64_e32 0, v[3:4]
	s_xor_b32 s1, exec_lo, s0
	s_cbranch_execz .LBB0_4
; %bb.3:                                ;   in Loop: Header=BB0_2 Depth=1
	v_cvt_f32_u32_e32 v4, s20
	v_cvt_f32_u32_e32 v7, s21
	s_sub_u32 s0, 0, s20
	s_subb_u32 s22, 0, s21
	v_fmac_f32_e32 v4, 0x4f800000, v7
	v_rcp_f32_e32 v4, v4
	v_mul_f32_e32 v4, 0x5f7ffffc, v4
	v_mul_f32_e32 v7, 0x2f800000, v4
	v_trunc_f32_e32 v7, v7
	v_fmac_f32_e32 v4, 0xcf800000, v7
	v_cvt_u32_f32_e32 v7, v7
	v_cvt_u32_f32_e32 v4, v4
	v_mul_lo_u32 v8, s0, v7
	v_mul_hi_u32 v9, s0, v4
	v_mul_lo_u32 v10, s22, v4
	v_add_nc_u32_e32 v8, v9, v8
	v_mul_lo_u32 v9, s0, v4
	v_add_nc_u32_e32 v8, v8, v10
	v_mul_hi_u32 v10, v4, v9
	v_mul_lo_u32 v11, v4, v8
	v_mul_hi_u32 v12, v4, v8
	v_mul_hi_u32 v13, v7, v9
	v_mul_lo_u32 v9, v7, v9
	v_mul_hi_u32 v14, v7, v8
	v_mul_lo_u32 v8, v7, v8
	v_add_co_u32 v10, vcc_lo, v10, v11
	v_add_co_ci_u32_e32 v11, vcc_lo, 0, v12, vcc_lo
	v_add_co_u32 v9, vcc_lo, v10, v9
	v_add_co_ci_u32_e32 v9, vcc_lo, v11, v13, vcc_lo
	v_add_co_ci_u32_e32 v10, vcc_lo, 0, v14, vcc_lo
	v_add_co_u32 v8, vcc_lo, v9, v8
	v_add_co_ci_u32_e32 v9, vcc_lo, 0, v10, vcc_lo
	v_add_co_u32 v4, vcc_lo, v4, v8
	v_add_co_ci_u32_e32 v7, vcc_lo, v7, v9, vcc_lo
	v_mul_hi_u32 v8, s0, v4
	v_mul_lo_u32 v10, s22, v4
	v_mul_lo_u32 v9, s0, v7
	v_add_nc_u32_e32 v8, v8, v9
	v_mul_lo_u32 v9, s0, v4
	v_add_nc_u32_e32 v8, v8, v10
	v_mul_hi_u32 v10, v4, v9
	v_mul_lo_u32 v11, v4, v8
	v_mul_hi_u32 v12, v4, v8
	v_mul_hi_u32 v13, v7, v9
	v_mul_lo_u32 v9, v7, v9
	v_mul_hi_u32 v14, v7, v8
	v_mul_lo_u32 v8, v7, v8
	v_add_co_u32 v10, vcc_lo, v10, v11
	v_add_co_ci_u32_e32 v11, vcc_lo, 0, v12, vcc_lo
	v_add_co_u32 v9, vcc_lo, v10, v9
	v_add_co_ci_u32_e32 v9, vcc_lo, v11, v13, vcc_lo
	v_add_co_ci_u32_e32 v10, vcc_lo, 0, v14, vcc_lo
	v_add_co_u32 v8, vcc_lo, v9, v8
	v_add_co_ci_u32_e32 v9, vcc_lo, 0, v10, vcc_lo
	v_add_co_u32 v4, vcc_lo, v4, v8
	v_add_co_ci_u32_e32 v11, vcc_lo, v7, v9, vcc_lo
	v_mul_hi_u32 v13, v5, v4
	v_mad_u64_u32 v[9:10], null, v6, v4, 0
	v_mad_u64_u32 v[7:8], null, v5, v11, 0
	;; [unrolled: 1-line block ×3, first 2 shown]
	v_add_co_u32 v4, vcc_lo, v13, v7
	v_add_co_ci_u32_e32 v7, vcc_lo, 0, v8, vcc_lo
	v_add_co_u32 v4, vcc_lo, v4, v9
	v_add_co_ci_u32_e32 v4, vcc_lo, v7, v10, vcc_lo
	v_add_co_ci_u32_e32 v7, vcc_lo, 0, v12, vcc_lo
	v_add_co_u32 v4, vcc_lo, v4, v11
	v_add_co_ci_u32_e32 v9, vcc_lo, 0, v7, vcc_lo
	v_mul_lo_u32 v10, s21, v4
	v_mad_u64_u32 v[7:8], null, s20, v4, 0
	v_mul_lo_u32 v11, s20, v9
	v_sub_co_u32 v7, vcc_lo, v5, v7
	v_add3_u32 v8, v8, v11, v10
	v_sub_nc_u32_e32 v10, v6, v8
	v_subrev_co_ci_u32_e64 v10, s0, s21, v10, vcc_lo
	v_add_co_u32 v11, s0, v4, 2
	v_add_co_ci_u32_e64 v12, s0, 0, v9, s0
	v_sub_co_u32 v13, s0, v7, s20
	v_sub_co_ci_u32_e32 v8, vcc_lo, v6, v8, vcc_lo
	v_subrev_co_ci_u32_e64 v10, s0, 0, v10, s0
	v_cmp_le_u32_e32 vcc_lo, s20, v13
	v_cmp_eq_u32_e64 s0, s21, v8
	v_cndmask_b32_e64 v13, 0, -1, vcc_lo
	v_cmp_le_u32_e32 vcc_lo, s21, v10
	v_cndmask_b32_e64 v14, 0, -1, vcc_lo
	v_cmp_le_u32_e32 vcc_lo, s20, v7
	;; [unrolled: 2-line block ×3, first 2 shown]
	v_cndmask_b32_e64 v15, 0, -1, vcc_lo
	v_cmp_eq_u32_e32 vcc_lo, s21, v10
	v_cndmask_b32_e64 v7, v15, v7, s0
	v_cndmask_b32_e32 v10, v14, v13, vcc_lo
	v_add_co_u32 v13, vcc_lo, v4, 1
	v_add_co_ci_u32_e32 v14, vcc_lo, 0, v9, vcc_lo
	v_cmp_ne_u32_e32 vcc_lo, 0, v10
	v_cndmask_b32_e32 v8, v14, v12, vcc_lo
	v_cndmask_b32_e32 v10, v13, v11, vcc_lo
	v_cmp_ne_u32_e32 vcc_lo, 0, v7
	v_cndmask_b32_e32 v8, v9, v8, vcc_lo
	v_cndmask_b32_e32 v7, v4, v10, vcc_lo
.LBB0_4:                                ;   in Loop: Header=BB0_2 Depth=1
	s_andn2_saveexec_b32 s0, s1
	s_cbranch_execz .LBB0_6
; %bb.5:                                ;   in Loop: Header=BB0_2 Depth=1
	v_cvt_f32_u32_e32 v4, s20
	s_sub_i32 s1, 0, s20
	v_rcp_iflag_f32_e32 v4, v4
	v_mul_f32_e32 v4, 0x4f7ffffe, v4
	v_cvt_u32_f32_e32 v4, v4
	v_mul_lo_u32 v7, s1, v4
	v_mul_hi_u32 v7, v4, v7
	v_add_nc_u32_e32 v4, v4, v7
	v_mul_hi_u32 v4, v5, v4
	v_mul_lo_u32 v7, v4, s20
	v_add_nc_u32_e32 v8, 1, v4
	v_sub_nc_u32_e32 v7, v5, v7
	v_subrev_nc_u32_e32 v9, s20, v7
	v_cmp_le_u32_e32 vcc_lo, s20, v7
	v_cndmask_b32_e32 v7, v7, v9, vcc_lo
	v_cndmask_b32_e32 v4, v4, v8, vcc_lo
	v_cmp_le_u32_e32 vcc_lo, s20, v7
	v_add_nc_u32_e32 v8, 1, v4
	v_cndmask_b32_e32 v7, v4, v8, vcc_lo
	v_mov_b32_e32 v8, v3
.LBB0_6:                                ;   in Loop: Header=BB0_2 Depth=1
	s_or_b32 exec_lo, exec_lo, s0
	s_load_dwordx2 s[0:1], s[6:7], 0x0
	v_mul_lo_u32 v4, v8, s20
	v_mul_lo_u32 v11, v7, s21
	v_mad_u64_u32 v[9:10], null, v7, s20, 0
	s_add_u32 s18, s18, 1
	s_addc_u32 s19, s19, 0
	s_add_u32 s6, s6, 8
	s_addc_u32 s7, s7, 0
	;; [unrolled: 2-line block ×3, first 2 shown]
	v_add3_u32 v4, v10, v11, v4
	v_sub_co_u32 v5, vcc_lo, v5, v9
	v_sub_co_ci_u32_e32 v4, vcc_lo, v6, v4, vcc_lo
	s_waitcnt lgkmcnt(0)
	v_mul_lo_u32 v6, s1, v5
	v_mul_lo_u32 v4, s0, v4
	v_mad_u64_u32 v[1:2], null, s0, v5, v[1:2]
	v_cmp_ge_u64_e64 s0, s[18:19], s[10:11]
	s_and_b32 vcc_lo, exec_lo, s0
	v_add3_u32 v2, v6, v2, v4
	s_cbranch_vccnz .LBB0_9
; %bb.7:                                ;   in Loop: Header=BB0_2 Depth=1
	v_mov_b32_e32 v5, v7
	v_mov_b32_e32 v6, v8
	s_branch .LBB0_2
.LBB0_8:
	v_mov_b32_e32 v8, v6
	v_mov_b32_e32 v7, v5
.LBB0_9:
	s_lshl_b64 s[0:1], s[10:11], 3
	v_mul_hi_u32 v3, 0x4104105, v0
	s_add_u32 s0, s14, s0
	s_addc_u32 s1, s15, s1
	s_load_dwordx2 s[4:5], s[4:5], 0x20
	s_load_dwordx2 s[0:1], s[0:1], 0x0
                                        ; implicit-def: $vgpr13
                                        ; implicit-def: $vgpr30
	v_mul_u32_u24_e32 v3, 63, v3
	v_sub_nc_u32_e32 v29, v0, v3
	v_add_nc_u32_e32 v12, 63, v29
	v_add_nc_u32_e32 v6, 0xbd, v29
	s_waitcnt lgkmcnt(0)
	v_cmp_gt_u64_e32 vcc_lo, s[4:5], v[7:8]
	v_mul_lo_u32 v3, s0, v8
	v_mul_lo_u32 v4, s1, v7
	v_mad_u64_u32 v[0:1], null, s0, v7, v[1:2]
	v_cmp_le_u64_e64 s0, s[4:5], v[7:8]
	v_add_nc_u32_e32 v7, 0xfc, v29
	v_add3_u32 v1, v4, v1, v3
	s_and_saveexec_b32 s1, s0
	s_xor_b32 s0, exec_lo, s1
; %bb.10:
	v_add_nc_u32_e32 v13, 63, v29
	v_add_nc_u32_e32 v30, 0x7e, v29
	;; [unrolled: 1-line block ×4, first 2 shown]
; %bb.11:
	s_or_saveexec_b32 s1, s0
	v_lshlrev_b64 v[4:5], 2, v[0:1]
                                        ; implicit-def: $vgpr23
                                        ; implicit-def: $vgpr1
                                        ; implicit-def: $vgpr37
                                        ; implicit-def: $vgpr16
                                        ; implicit-def: $vgpr36
                                        ; implicit-def: $vgpr17
                                        ; implicit-def: $vgpr34
                                        ; implicit-def: $vgpr14
                                        ; implicit-def: $vgpr33
                                        ; implicit-def: $vgpr8
                                        ; implicit-def: $vgpr32
                                        ; implicit-def: $vgpr28
                                        ; implicit-def: $vgpr0
                                        ; implicit-def: $vgpr9
                                        ; implicit-def: $vgpr27
                                        ; implicit-def: $vgpr22
                                        ; implicit-def: $vgpr20
                                        ; implicit-def: $vgpr19
                                        ; implicit-def: $vgpr21
                                        ; implicit-def: $vgpr18
                                        ; implicit-def: $vgpr10
                                        ; implicit-def: $vgpr11
                                        ; implicit-def: $vgpr31
                                        ; implicit-def: $vgpr25
                                        ; implicit-def: $vgpr24
                                        ; implicit-def: $vgpr2
                                        ; implicit-def: $vgpr35
                                        ; implicit-def: $vgpr15
                                        ; implicit-def: $vgpr26
                                        ; implicit-def: $vgpr3
	s_xor_b32 exec_lo, exec_lo, s1
	s_cbranch_execz .LBB0_13
; %bb.12:
	v_add_nc_u32_e32 v15, 0x13b, v29
	v_mad_u64_u32 v[0:1], null, s2, v29, 0
	v_add_nc_u32_e32 v17, 0x276, v29
	v_mad_u64_u32 v[13:14], null, s2, v12, 0
	v_mad_u64_u32 v[2:3], null, s2, v15, 0
	;; [unrolled: 1-line block ×3, first 2 shown]
	v_add_nc_u32_e32 v19, 0x17a, v29
	v_add_nc_u32_e32 v21, 0x2b5, v29
	;; [unrolled: 1-line block ×3, first 2 shown]
	v_add_co_u32 v35, s0, s12, v4
	v_mad_u64_u32 v[10:11], null, s3, v29, v[1:2]
	v_mov_b32_e32 v1, v3
	v_add_co_ci_u32_e64 v36, s0, s13, v5, s0
	v_add_nc_u32_e32 v25, 0x1b9, v29
	v_add_nc_u32_e32 v27, 0x2f4, v29
	v_mad_u64_u32 v[15:16], null, s3, v15, v[1:2]
	v_mov_b32_e32 v1, v10
	v_mad_u64_u32 v[9:10], null, s3, v17, v[9:10]
	v_mov_b32_e32 v10, v14
	;; [unrolled: 2-line block ×3, first 2 shown]
	v_mad_u64_u32 v[15:16], null, s2, v19, 0
	v_mad_u64_u32 v[10:11], null, s3, v12, v[10:11]
	v_lshlrev_b64 v[0:1], 2, v[0:1]
	v_lshlrev_b64 v[2:3], 2, v[2:3]
	;; [unrolled: 1-line block ×3, first 2 shown]
	v_add_nc_u32_e32 v33, 0x1f8, v29
	v_mov_b32_e32 v14, v10
	v_mov_b32_e32 v10, v16
	v_add_co_u32 v0, s0, v35, v0
	v_add_co_ci_u32_e64 v1, s0, v36, v1, s0
	v_mad_u64_u32 v[10:11], null, s3, v19, v[10:11]
	v_mad_u64_u32 v[19:20], null, s2, v30, 0
	v_mov_b32_e32 v11, v18
	v_add_co_u32 v2, s0, v35, v2
	v_lshlrev_b64 v[13:14], 2, v[13:14]
	v_mov_b32_e32 v16, v10
	v_mad_u64_u32 v[10:11], null, s3, v21, v[11:12]
	v_mad_u64_u32 v[21:22], null, s2, v25, 0
	v_mov_b32_e32 v11, v20
	v_add_co_ci_u32_e64 v3, s0, v36, v3, s0
	v_add_co_u32 v8, s0, v35, v8
	v_lshlrev_b64 v[15:16], 2, v[15:16]
	v_add_co_ci_u32_e64 v9, s0, v36, v9, s0
	v_add_co_u32 v13, s0, v35, v13
	v_mov_b32_e32 v18, v10
	v_mad_u64_u32 v[10:11], null, s3, v30, v[11:12]
	v_mov_b32_e32 v11, v22
	v_add_co_ci_u32_e64 v14, s0, v36, v14, s0
	v_add_co_u32 v23, s0, v35, v15
	v_add_co_ci_u32_e64 v24, s0, v36, v16, s0
	v_lshlrev_b64 v[15:16], 2, v[17:18]
	v_mad_u64_u32 v[17:18], null, s3, v25, v[11:12]
	v_mad_u64_u32 v[25:26], null, s2, v27, 0
	v_mov_b32_e32 v20, v10
	v_add_co_u32 v10, s0, v35, v15
	v_add_co_ci_u32_e64 v11, s0, v36, v16, s0
	v_lshlrev_b64 v[15:16], 2, v[19:20]
	v_mad_u64_u32 v[18:19], null, s2, v6, 0
	v_mov_b32_e32 v22, v17
	v_mov_b32_e32 v17, v26
	v_mad_u64_u32 v[31:32], null, s2, v33, 0
	v_lshlrev_b64 v[20:21], 2, v[21:22]
	v_mad_u64_u32 v[26:27], null, s3, v27, v[17:18]
	v_add_co_u32 v27, s0, v35, v15
	v_mov_b32_e32 v15, v19
	v_add_co_ci_u32_e64 v28, s0, v36, v16, s0
	v_add_co_u32 v19, s0, v35, v20
	v_add_co_ci_u32_e64 v20, s0, v36, v21, s0
	v_mad_u64_u32 v[21:22], null, s3, v6, v[15:16]
	s_clause 0x7
	global_load_dword v1, v[0:1], off
	global_load_dword v16, v[2:3], off
	;; [unrolled: 1-line block ×8, first 2 shown]
	v_add_nc_u32_e32 v11, 0x333, v29
	v_mov_b32_e32 v0, v32
	v_add_nc_u32_e32 v13, 0x237, v29
	v_lshlrev_b64 v[9:10], 2, v[25:26]
	v_mov_b32_e32 v19, v21
	v_mad_u64_u32 v[20:21], null, s2, v11, 0
	v_mad_u64_u32 v[25:26], null, s2, v13, 0
	v_lshlrev_b64 v[18:19], 2, v[18:19]
	v_add_co_u32 v9, s0, v35, v9
	v_add_co_ci_u32_e64 v10, s0, v36, v10, s0
	v_add_co_u32 v18, s0, v35, v18
	v_add_co_ci_u32_e64 v19, s0, v36, v19, s0
	s_waitcnt vmcnt(7)
	v_mad_u64_u32 v[22:23], null, s3, v33, v[0:1]
	v_mad_u64_u32 v[23:24], null, s2, v7, 0
	v_mov_b32_e32 v0, v21
	s_waitcnt vmcnt(6)
	v_lshrrev_b32_e32 v37, 16, v16
	v_mov_b32_e32 v32, v22
	v_mad_u64_u32 v[21:22], null, s3, v11, v[0:1]
	v_mov_b32_e32 v0, v24
	v_add_nc_u32_e32 v11, 0x372, v29
	v_lshlrev_b64 v[31:32], 2, v[31:32]
	v_mad_u64_u32 v[27:28], null, s3, v7, v[0:1]
	v_mad_u64_u32 v[33:34], null, s2, v11, 0
	v_mov_b32_e32 v0, v26
	v_lshlrev_b64 v[20:21], 2, v[20:21]
	v_add_co_u32 v31, s0, v35, v31
	v_mov_b32_e32 v24, v27
	v_mad_u64_u32 v[26:27], null, s3, v13, v[0:1]
	v_mov_b32_e32 v0, v34
	v_add_co_ci_u32_e64 v32, s0, v36, v32, s0
	v_lshlrev_b64 v[22:23], 2, v[23:24]
	v_add_co_u32 v20, s0, v35, v20
	v_mad_u64_u32 v[27:28], null, s3, v11, v[0:1]
	v_add_co_ci_u32_e64 v21, s0, v36, v21, s0
	v_lshlrev_b64 v[24:25], 2, v[25:26]
	v_add_co_u32 v26, s0, v35, v22
	v_mov_b32_e32 v13, v12
	v_mov_b32_e32 v34, v27
	v_add_co_ci_u32_e64 v27, s0, v36, v23, s0
	v_lshlrev_b64 v[22:23], 2, v[33:34]
	v_add_co_u32 v33, s0, v35, v24
	v_add_co_ci_u32_e64 v34, s0, v36, v25, s0
	s_waitcnt vmcnt(1)
	v_lshrrev_b32_e32 v24, 16, v2
	v_add_co_u32 v35, s0, v35, v22
	v_add_co_ci_u32_e64 v36, s0, v36, v23, s0
	s_clause 0x6
	global_load_dword v28, v[9:10], off
	global_load_dword v9, v[18:19], off
	;; [unrolled: 1-line block ×7, first 2 shown]
	v_lshrrev_b32_e32 v23, 16, v1
	v_lshrrev_b32_e32 v36, 16, v17
	;; [unrolled: 1-line block ×5, first 2 shown]
	s_waitcnt vmcnt(7)
	v_lshrrev_b32_e32 v33, 16, v8
	s_waitcnt vmcnt(6)
	v_lshrrev_b32_e32 v32, 16, v28
	;; [unrolled: 2-line block ×8, first 2 shown]
.LBB0_13:
	s_or_b32 exec_lo, exec_lo, s1
	v_add_f16_e32 v38, v16, v17
	v_add_f16_e32 v41, v37, v36
	;; [unrolled: 1-line block ×3, first 2 shown]
	v_sub_f16_e32 v40, v37, v36
	v_add_f16_e32 v37, v23, v37
	v_fmac_f16_e32 v1, -0.5, v38
	v_sub_f16_e32 v16, v16, v17
	v_fmac_f16_e32 v23, -0.5, v41
	v_add_f16_e32 v17, v39, v17
	v_mad_u32_u24 v47, v29, 6, 0
	v_fmamk_f16 v38, v40, 0xbaee, v1
	v_fmac_f16_e32 v1, 0x3aee, v40
	v_add_f16_e32 v40, v37, v36
	v_add_f16_e32 v36, v14, v15
	v_fmamk_f16 v41, v16, 0x3aee, v23
	v_fmac_f16_e32 v23, 0xbaee, v16
	v_add_f16_e32 v16, v34, v35
	v_add_f16_e32 v37, v14, v3
	v_fmac_f16_e32 v3, -0.5, v36
	v_sub_f16_e32 v36, v34, v35
	v_add_f16_e32 v34, v34, v26
	v_fmac_f16_e32 v26, -0.5, v16
	v_sub_f16_e32 v14, v14, v15
	v_add_f16_e32 v16, v8, v28
	v_add_f16_e32 v37, v15, v37
	;; [unrolled: 1-line block ×4, first 2 shown]
	v_fmamk_f16 v43, v14, 0x3aee, v26
	v_fmac_f16_e32 v26, 0xbaee, v14
	v_add_f16_e32 v14, v33, v32
	v_fmac_f16_e32 v2, -0.5, v16
	v_sub_f16_e32 v16, v33, v32
	v_add_f16_e32 v34, v28, v34
	v_add_f16_e32 v33, v33, v24
	v_fmac_f16_e32 v24, -0.5, v14
	v_sub_f16_e32 v8, v8, v28
	v_fmamk_f16 v28, v16, 0xbaee, v2
	v_fmac_f16_e32 v2, 0x3aee, v16
	v_add_f16_e32 v14, v22, v25
	v_add_f16_e32 v16, v9, v25
	v_add_f16_e32 v44, v32, v33
	v_fmamk_f16 v45, v8, 0x3aee, v24
	v_fmac_f16_e32 v24, 0xbaee, v8
	v_add_f16_e32 v8, v27, v31
	v_fmac_f16_e32 v9, -0.5, v14
	v_sub_f16_e32 v14, v31, v27
	v_add_f16_e32 v32, v22, v16
	v_add_f16_e32 v16, v0, v31
	v_fmac_f16_e32 v0, -0.5, v8
	v_sub_f16_e32 v8, v25, v22
	v_fmamk_f16 v22, v14, 0xbaee, v9
	v_fmac_f16_e32 v9, 0x3aee, v14
	v_add_f16_e32 v27, v27, v16
	v_add_f16_e32 v14, v19, v18
	;; [unrolled: 1-line block ×3, first 2 shown]
	v_fmamk_f16 v46, v8, 0x3aee, v0
	v_fmac_f16_e32 v0, 0xbaee, v8
	v_add_f16_e32 v8, v20, v21
	v_fmac_f16_e32 v11, -0.5, v14
	v_sub_f16_e32 v14, v21, v20
	v_add_f16_e32 v25, v19, v16
	v_add_f16_e32 v16, v21, v10
	v_fmac_f16_e32 v10, -0.5, v8
	v_sub_f16_e32 v8, v18, v19
	v_fmamk_f16 v18, v14, 0xbaee, v11
	v_fmac_f16_e32 v11, 0x3aee, v14
	v_add_f16_e32 v48, v20, v16
	v_mad_i32_i24 v14, v13, 6, 0
	v_mad_i32_i24 v16, v30, 6, 0
	v_fmamk_f16 v15, v36, 0xbaee, v3
	ds_write_b16 v47, v17
	ds_write_b16 v47, v38 offset:2
	ds_write_b16 v47, v1 offset:4
	v_lshlrev_b32_e32 v1, 2, v29
	v_fmac_f16_e32 v3, 0x3aee, v36
	v_mad_i32_i24 v50, v6, 6, 0
	ds_write_b16 v14, v37
	ds_write_b16 v14, v15 offset:2
	ds_write_b16 v14, v3 offset:4
	ds_write_b16 v16, v34
	ds_write_b16 v16, v28 offset:2
	v_mad_i32_i24 v28, v7, 6, 0
	ds_write_b16 v16, v2 offset:4
	ds_write_b16 v50, v32
	ds_write_b16 v50, v22 offset:2
	ds_write_b16 v50, v9 offset:4
	ds_write_b16 v28, v25
	ds_write_b16 v28, v18 offset:2
	v_lshlrev_b32_e32 v17, 2, v13
	v_sub_nc_u32_e32 v15, v47, v1
	v_lshlrev_b32_e32 v18, 2, v30
	v_lshlrev_b32_e32 v1, 2, v6
	;; [unrolled: 1-line block ×3, first 2 shown]
	v_and_b32_e32 v25, 0xff, v29
	v_fmamk_f16 v49, v8, 0x3aee, v10
	v_fmac_f16_e32 v10, 0xbaee, v8
	ds_write_b16 v28, v11 offset:4
	s_waitcnt lgkmcnt(0)
	s_barrier
	buffer_gl0_inv
	v_sub_nc_u32_e32 v19, v14, v17
	v_sub_nc_u32_e32 v20, v16, v18
	;; [unrolled: 1-line block ×4, first 2 shown]
	ds_read_u16 v3, v15
	ds_read_u16 v37, v15 offset:630
	ds_read_u16 v36, v15 offset:756
	;; [unrolled: 1-line block ×6, first 2 shown]
	ds_read_u16 v2, v21
	ds_read_u16 v1, v22
	ds_read_u16 v38, v15 offset:1386
	ds_read_u16 v39, v15 offset:1260
	;; [unrolled: 1-line block ×3, first 2 shown]
	ds_read_u16 v8, v20
	ds_read_u16 v9, v19
	ds_read_u16 v35, v15 offset:1764
	s_waitcnt lgkmcnt(0)
	s_barrier
	buffer_gl0_inv
	ds_write_b16 v47, v40
	ds_write_b16 v47, v41 offset:2
	ds_write_b16 v47, v23 offset:4
	ds_write_b16 v14, v42
	v_mul_lo_u16 v23, 0xab, v25
	ds_write_b16 v14, v43 offset:2
	ds_write_b16 v14, v26 offset:4
	ds_write_b16 v16, v44
	ds_write_b16 v16, v45 offset:2
	ds_write_b16 v16, v24 offset:4
	v_and_b32_e32 v26, 0xff, v13
	v_and_b32_e32 v24, 0xff, v30
	v_lshrrev_b16 v51, 9, v23
	ds_write_b16 v50, v27
	ds_write_b16 v50, v46 offset:2
	ds_write_b16 v50, v0 offset:4
	v_mul_lo_u16 v0, 0xab, v26
	ds_write_b16 v28, v48
	ds_write_b16 v28, v49 offset:2
	v_mul_lo_u16 v23, v51, 3
	ds_write_b16 v28, v10 offset:4
	v_and_b32_e32 v10, 0xff, v6
	v_lshrrev_b16 v52, 9, v0
	v_mov_b32_e32 v28, 0xaaab
	v_sub_nc_u16 v50, v29, v23
	v_mul_lo_u16 v23, 0xab, v24
	v_mul_lo_u16 v40, 0xab, v10
	;; [unrolled: 1-line block ×3, first 2 shown]
	v_mov_b32_e32 v0, 3
	v_mul_u32_u24_sdwa v28, v7, v28 dst_sel:DWORD dst_unused:UNUSED_PAD src0_sel:WORD_0 src1_sel:DWORD
	v_lshrrev_b16 v53, 9, v23
	v_lshrrev_b16 v54, 9, v40
	v_sub_nc_u16 v55, v13, v27
	v_lshlrev_b32_sdwa v23, v0, v50 dst_sel:DWORD dst_unused:UNUSED_PAD src0_sel:DWORD src1_sel:BYTE_0
	v_lshrrev_b32_e32 v28, 17, v28
	v_mul_lo_u16 v40, v53, 3
	v_mul_lo_u16 v27, v54, 3
	v_lshlrev_b32_sdwa v42, v0, v55 dst_sel:DWORD dst_unused:UNUSED_PAD src0_sel:DWORD src1_sel:BYTE_0
	s_waitcnt lgkmcnt(0)
	s_barrier
	v_sub_nc_u16 v56, v30, v40
	v_sub_nc_u16 v57, v6, v27
	buffer_gl0_inv
	s_clause 0x1
	global_load_dwordx2 v[40:41], v23, s[8:9]
	global_load_dwordx2 v[42:43], v42, s[8:9]
	v_lshlrev_b32_sdwa v27, v0, v56 dst_sel:DWORD dst_unused:UNUSED_PAD src0_sel:DWORD src1_sel:BYTE_0
	v_mov_b32_e32 v59, 18
	v_mul_u32_u24_e32 v76, 18, v28
	v_mul_lo_u16 v60, v26, 57
	v_mul_lo_u16 v26, v26, 19
	global_load_dwordx2 v[44:45], v27, s[8:9]
	v_mul_lo_u16 v23, v28, 3
	v_mul_u32_u24_sdwa v51, v51, v59 dst_sel:DWORD dst_unused:UNUSED_PAD src0_sel:WORD_0 src1_sel:DWORD
	v_mul_u32_u24_sdwa v52, v52, v59 dst_sel:DWORD dst_unused:UNUSED_PAD src0_sel:WORD_0 src1_sel:DWORD
	;; [unrolled: 1-line block ×4, first 2 shown]
	v_sub_nc_u16 v58, v7, v23
	v_lshlrev_b32_sdwa v23, v0, v57 dst_sel:DWORD dst_unused:UNUSED_PAD src0_sel:DWORD src1_sel:BYTE_0
	v_sub_nc_u32_e32 v18, 0, v18
	v_sub_nc_u32_e32 v17, 0, v17
	v_cmp_gt_u32_e64 s0, 9, v29
	v_lshlrev_b32_sdwa v27, v0, v58 dst_sel:DWORD dst_unused:UNUSED_PAD src0_sel:DWORD src1_sel:WORD_0
	s_clause 0x1
	global_load_dwordx2 v[46:47], v23, s[8:9]
	global_load_dwordx2 v[48:49], v27, s[8:9]
	ds_read_u16 v61, v15 offset:1386
	ds_read_u16 v62, v15 offset:756
	;; [unrolled: 1-line block ×6, first 2 shown]
	ds_read_u16 v67, v21
	ds_read_u16 v68, v22
	ds_read_u16 v69, v15 offset:1512
	ds_read_u16 v70, v15 offset:1638
	;; [unrolled: 1-line block ×4, first 2 shown]
	ds_read_u16 v73, v15
	v_mul_lo_u16 v27, v25, 57
	v_mov_b32_e32 v23, 1
	ds_read_u16 v59, v20
	ds_read_u16 v75, v19
	s_waitcnt vmcnt(0) lgkmcnt(0)
	s_barrier
	v_lshrrev_b16 v27, 9, v27
	v_lshlrev_b32_sdwa v50, v23, v50 dst_sel:DWORD dst_unused:UNUSED_PAD src0_sel:DWORD src1_sel:BYTE_0
	v_lshlrev_b32_sdwa v55, v23, v55 dst_sel:DWORD dst_unused:UNUSED_PAD src0_sel:DWORD src1_sel:BYTE_0
	;; [unrolled: 1-line block ×4, first 2 shown]
	v_mul_lo_u16 v74, v27, 9
	v_lshlrev_b32_sdwa v58, v23, v58 dst_sel:DWORD dst_unused:UNUSED_PAD src0_sel:DWORD src1_sel:WORD_0
	v_add3_u32 v50, 0, v51, v50
	v_add3_u32 v51, 0, v52, v55
	;; [unrolled: 1-line block ×4, first 2 shown]
	v_sub_nc_u16 v28, v29, v74
	v_add3_u32 v54, 0, v76, v58
	buffer_gl0_inv
	v_mul_lo_u16 v25, v25, 19
	v_add_nc_u32_e32 v16, v16, v18
	v_lshrrev_b16 v25, 9, v25
	v_mul_f16_sdwa v55, v72, v40 dst_sel:DWORD dst_unused:UNUSED_PAD src0_sel:DWORD src1_sel:WORD_1
	v_mul_f16_sdwa v57, v65, v41 dst_sel:DWORD dst_unused:UNUSED_PAD src0_sel:DWORD src1_sel:WORD_1
	;; [unrolled: 1-line block ×10, first 2 shown]
	v_fmac_f16_e32 v55, v37, v40
	v_fmac_f16_e32 v57, v39, v41
	v_mul_f16_sdwa v78, v38, v43 dst_sel:DWORD dst_unused:UNUSED_PAD src0_sel:DWORD src1_sel:WORD_1
	v_mul_f16_sdwa v82, v33, v45 dst_sel:DWORD dst_unused:UNUSED_PAD src0_sel:DWORD src1_sel:WORD_1
	v_fmac_f16_e32 v74, v36, v42
	v_fmac_f16_e32 v77, v38, v43
	v_fma_f16 v37, v72, v40, -v56
	v_fma_f16 v39, v65, v41, -v58
	v_fmac_f16_e32 v79, v32, v44
	v_fmac_f16_e32 v81, v33, v45
	v_fma_f16 v36, v62, v42, -v76
	v_mul_f16_sdwa v83, v64, v46 dst_sel:DWORD dst_unused:UNUSED_PAD src0_sel:DWORD src1_sel:WORD_1
	v_mul_f16_sdwa v85, v70, v47 dst_sel:DWORD dst_unused:UNUSED_PAD src0_sel:DWORD src1_sel:WORD_1
	;; [unrolled: 1-line block ×8, first 2 shown]
	v_fmac_f16_e32 v83, v11, v46
	v_fmac_f16_e32 v85, v31, v47
	;; [unrolled: 1-line block ×4, first 2 shown]
	v_fma_f16 v32, v63, v44, -v80
	v_add_f16_e32 v41, v55, v57
	v_fma_f16 v38, v61, v43, -v78
	v_fma_f16 v33, v69, v45, -v82
	;; [unrolled: 1-line block ×6, first 2 shown]
	v_add_f16_e32 v46, v74, v77
	v_add_f16_e32 v40, v3, v55
	;; [unrolled: 1-line block ×3, first 2 shown]
	v_sub_f16_e32 v44, v37, v39
	v_add_f16_e32 v37, v37, v39
	v_add_f16_e32 v56, v79, v81
	v_add_f16_e32 v64, v83, v85
	v_add_f16_e32 v71, v87, v89
	v_add_f16_e32 v47, v75, v36
	v_add_f16_e32 v58, v59, v32
	v_fmac_f16_e32 v3, -0.5, v41
	v_add_f16_e32 v45, v9, v74
	v_sub_f16_e32 v49, v36, v38
	v_add_f16_e32 v36, v36, v38
	v_sub_f16_e32 v48, v74, v77
	v_sub_f16_e32 v62, v32, v33
	v_add_f16_e32 v32, v32, v33
	v_add_f16_e32 v69, v11, v31
	;; [unrolled: 1-line block ×4, first 2 shown]
	v_fmac_f16_e32 v9, -0.5, v46
	v_sub_f16_e32 v43, v55, v57
	v_add_f16_e32 v55, v8, v79
	v_add_f16_e32 v63, v2, v83
	;; [unrolled: 1-line block ×3, first 2 shown]
	v_sub_f16_e32 v11, v11, v31
	v_add_f16_e32 v70, v1, v87
	v_sub_f16_e32 v34, v34, v35
	v_add_f16_e32 v40, v40, v57
	v_fmac_f16_e32 v73, -0.5, v37
	v_fmac_f16_e32 v8, -0.5, v56
	;; [unrolled: 1-line block ×4, first 2 shown]
	v_add_f16_e32 v46, v47, v38
	v_add_f16_e32 v47, v58, v33
	v_fmamk_f16 v33, v44, 0xbaee, v3
	v_fmac_f16_e32 v3, 0x3aee, v44
	v_add_f16_e32 v37, v45, v77
	v_fmac_f16_e32 v75, -0.5, v36
	v_sub_f16_e32 v61, v79, v81
	v_sub_f16_e32 v65, v83, v85
	;; [unrolled: 1-line block ×3, first 2 shown]
	v_add_f16_e32 v57, v42, v39
	v_fmac_f16_e32 v59, -0.5, v32
	v_fmac_f16_e32 v67, -0.5, v69
	v_add_f16_e32 v56, v74, v35
	v_fmac_f16_e32 v68, -0.5, v76
	v_fmamk_f16 v35, v49, 0xbaee, v9
	v_add_f16_e32 v36, v55, v81
	v_add_f16_e32 v32, v63, v85
	;; [unrolled: 1-line block ×4, first 2 shown]
	v_fmamk_f16 v58, v43, 0x3aee, v73
	v_fmac_f16_e32 v9, 0x3aee, v49
	v_fmamk_f16 v38, v62, 0xbaee, v8
	v_fmac_f16_e32 v8, 0x3aee, v62
	;; [unrolled: 2-line block ×4, first 2 shown]
	ds_write_b16 v50, v40
	ds_write_b16 v50, v33 offset:6
	ds_write_b16 v50, v3 offset:12
	ds_write_b16 v51, v37
	ds_write_b16 v51, v35 offset:6
	ds_write_b16 v51, v9 offset:12
	;; [unrolled: 3-line block ×5, first 2 shown]
	v_mov_b32_e32 v3, 0xe38f
	v_fmac_f16_e32 v73, 0xbaee, v43
	v_fmamk_f16 v49, v48, 0x3aee, v75
	v_fmac_f16_e32 v75, 0xbaee, v48
	v_fmamk_f16 v48, v61, 0x3aee, v59
	;; [unrolled: 2-line block ×4, first 2 shown]
	v_fmac_f16_e32 v68, 0xbaee, v72
	s_waitcnt lgkmcnt(0)
	s_barrier
	buffer_gl0_inv
	ds_read_u16 v33, v15
	ds_read_u16 v43, v15 offset:630
	ds_read_u16 v42, v15 offset:756
	;; [unrolled: 1-line block ×6, first 2 shown]
	ds_read_u16 v32, v21
	ds_read_u16 v31, v22
	ds_read_u16 v44, v15 offset:1386
	ds_read_u16 v45, v15 offset:1260
	;; [unrolled: 1-line block ×3, first 2 shown]
	ds_read_u16 v34, v20
	ds_read_u16 v35, v19
	ds_read_u16 v41, v15 offset:1764
	s_waitcnt lgkmcnt(0)
	s_barrier
	buffer_gl0_inv
	ds_write_b16 v50, v57
	ds_write_b16 v50, v58 offset:6
	ds_write_b16 v50, v73 offset:12
	ds_write_b16 v51, v46
	ds_write_b16 v51, v49 offset:6
	ds_write_b16 v51, v75 offset:12
	ds_write_b16 v52, v47
	ds_write_b16 v52, v48 offset:6
	ds_write_b16 v52, v59 offset:12
	ds_write_b16 v53, v55
	ds_write_b16 v53, v11 offset:6
	ds_write_b16 v53, v67 offset:12
	ds_write_b16 v54, v56
	ds_write_b16 v54, v61 offset:6
	ds_write_b16 v54, v68 offset:12
	v_lshrrev_b16 v46, 9, v60
	v_mul_lo_u16 v1, v24, 57
	v_mul_lo_u16 v8, v10, 57
	v_mul_u32_u24_sdwa v3, v7, v3 dst_sel:DWORD dst_unused:UNUSED_PAD src0_sel:WORD_0 src1_sel:DWORD
	v_lshlrev_b32_sdwa v2, v0, v28 dst_sel:DWORD dst_unused:UNUSED_PAD src0_sel:DWORD src1_sel:BYTE_0
	s_waitcnt lgkmcnt(0)
	v_lshrrev_b16 v47, 9, v1
	v_mul_lo_u16 v1, v46, 9
	v_lshrrev_b16 v48, 9, v8
	v_lshrrev_b32_e32 v50, 19, v3
	s_barrier
	v_mul_lo_u16 v8, v47, 9
	v_sub_nc_u16 v49, v13, v1
	v_mul_lo_u16 v1, v48, 9
	v_mul_lo_u16 v10, v50, 9
	buffer_gl0_inv
	v_sub_nc_u16 v51, v30, v8
	v_lshlrev_b32_sdwa v8, v0, v49 dst_sel:DWORD dst_unused:UNUSED_PAD src0_sel:DWORD src1_sel:BYTE_0
	v_sub_nc_u16 v52, v6, v1
	v_sub_nc_u16 v53, v7, v10
	global_load_dwordx2 v[2:3], v2, s[8:9] offset:24
	v_lshlrev_b32_sdwa v1, v0, v51 dst_sel:DWORD dst_unused:UNUSED_PAD src0_sel:DWORD src1_sel:BYTE_0
	global_load_dwordx2 v[8:9], v8, s[8:9] offset:24
	v_lshlrev_b32_sdwa v6, v0, v52 dst_sel:DWORD dst_unused:UNUSED_PAD src0_sel:DWORD src1_sel:BYTE_0
	v_lshlrev_b32_sdwa v0, v0, v53 dst_sel:DWORD dst_unused:UNUSED_PAD src0_sel:DWORD src1_sel:WORD_0
	v_mov_b32_e32 v55, 54
	s_clause 0x2
	global_load_dwordx2 v[10:11], v1, s[8:9] offset:24
	global_load_dwordx2 v[6:7], v6, s[8:9] offset:24
	;; [unrolled: 1-line block ×3, first 2 shown]
	v_lshlrev_b32_sdwa v28, v23, v28 dst_sel:DWORD dst_unused:UNUSED_PAD src0_sel:DWORD src1_sel:BYTE_0
	v_mul_u32_u24_sdwa v27, v27, v55 dst_sel:DWORD dst_unused:UNUSED_PAD src0_sel:WORD_0 src1_sel:DWORD
	v_mul_u32_u24_sdwa v46, v46, v55 dst_sel:DWORD dst_unused:UNUSED_PAD src0_sel:WORD_0 src1_sel:DWORD
	;; [unrolled: 1-line block ×3, first 2 shown]
	v_lshlrev_b32_sdwa v49, v23, v49 dst_sel:DWORD dst_unused:UNUSED_PAD src0_sel:DWORD src1_sel:BYTE_0
	v_lshlrev_b32_sdwa v51, v23, v51 dst_sel:DWORD dst_unused:UNUSED_PAD src0_sel:DWORD src1_sel:BYTE_0
	v_add3_u32 v27, 0, v27, v28
	v_mul_u32_u24_sdwa v48, v48, v55 dst_sel:DWORD dst_unused:UNUSED_PAD src0_sel:WORD_0 src1_sel:DWORD
	v_mul_u32_u24_e32 v50, 54, v50
	v_add3_u32 v28, 0, v46, v49
	v_add3_u32 v46, 0, v47, v51
	ds_read_u16 v47, v15 offset:630
	ds_read_u16 v49, v15 offset:1260
	v_lshlrev_b32_sdwa v52, v23, v52 dst_sel:DWORD dst_unused:UNUSED_PAD src0_sel:DWORD src1_sel:BYTE_0
	v_lshlrev_b32_sdwa v53, v23, v53 dst_sel:DWORD dst_unused:UNUSED_PAD src0_sel:DWORD src1_sel:WORD_0
	v_mul_lo_u16 v54, v24, 19
	v_lshrrev_b16 v24, 9, v26
	v_mov_b32_e32 v56, 4
	v_add3_u32 v48, 0, v48, v52
	v_add3_u32 v50, 0, v50, v53
	ds_read_u16 v51, v15 offset:756
	ds_read_u16 v52, v15 offset:1386
	;; [unrolled: 1-line block ×6, first 2 shown]
	ds_read_u16 v61, v21
	ds_read_u16 v22, v22
	ds_read_u16 v62, v15 offset:1638
	ds_read_u16 v63, v15 offset:1764
	ds_read_u16 v64, v20
	ds_read_u16 v65, v19
	;; [unrolled: 1-line block ×3, first 2 shown]
	v_lshrrev_b16 v26, 9, v54
	v_mul_lo_u16 v57, v24, 27
	v_mul_lo_u16 v54, v25, 27
	s_waitcnt vmcnt(0) lgkmcnt(0)
	s_barrier
	buffer_gl0_inv
	v_sub_nc_u16 v57, v13, v57
	v_sub_nc_u16 v58, v29, v54
	v_lshlrev_b32_sdwa v54, v56, v58 dst_sel:DWORD dst_unused:UNUSED_PAD src0_sel:DWORD src1_sel:BYTE_0
	v_mul_f16_sdwa v67, v47, v2 dst_sel:DWORD dst_unused:UNUSED_PAD src0_sel:DWORD src1_sel:WORD_1
	v_mul_f16_sdwa v69, v49, v3 dst_sel:DWORD dst_unused:UNUSED_PAD src0_sel:DWORD src1_sel:WORD_1
	;; [unrolled: 1-line block ×14, first 2 shown]
	v_fmac_f16_e32 v67, v43, v2
	v_fmac_f16_e32 v69, v45, v3
	v_mul_f16_sdwa v72, v42, v8 dst_sel:DWORD dst_unused:UNUSED_PAD src0_sel:DWORD src1_sel:WORD_1
	v_mul_f16_sdwa v74, v44, v9 dst_sel:DWORD dst_unused:UNUSED_PAD src0_sel:DWORD src1_sel:WORD_1
	v_fmac_f16_e32 v71, v42, v8
	v_fmac_f16_e32 v73, v44, v9
	v_mul_f16_sdwa v76, v38, v10 dst_sel:DWORD dst_unused:UNUSED_PAD src0_sel:DWORD src1_sel:WORD_1
	v_mul_f16_sdwa v78, v39, v11 dst_sel:DWORD dst_unused:UNUSED_PAD src0_sel:DWORD src1_sel:WORD_1
	;; [unrolled: 1-line block ×4, first 2 shown]
	v_fma_f16 v2, v47, v2, -v68
	v_fma_f16 v3, v49, v3, -v70
	v_fmac_f16_e32 v75, v38, v10
	v_fmac_f16_e32 v77, v39, v11
	;; [unrolled: 1-line block ×6, first 2 shown]
	v_fma_f16 v0, v59, v0, -v84
	v_fma_f16 v1, v63, v1, -v86
	v_add_f16_e32 v37, v67, v69
	v_fma_f16 v8, v51, v8, -v72
	v_fma_f16 v9, v52, v9, -v74
	v_add_f16_e32 v42, v71, v73
	v_fma_f16 v10, v53, v10, -v76
	v_fma_f16 v11, v60, v11, -v78
	;; [unrolled: 1-line block ×4, first 2 shown]
	v_add_f16_e32 v36, v33, v67
	v_sub_f16_e32 v38, v2, v3
	v_add_f16_e32 v39, v66, v2
	v_add_f16_e32 v2, v2, v3
	;; [unrolled: 1-line block ×6, first 2 shown]
	v_sub_f16_e32 v45, v71, v73
	v_sub_f16_e32 v70, v0, v1
	v_add_f16_e32 v71, v22, v0
	v_add_f16_e32 v0, v0, v1
	v_fmac_f16_e32 v33, -0.5, v37
	v_sub_f16_e32 v43, v8, v9
	v_add_f16_e32 v44, v65, v8
	v_add_f16_e32 v8, v8, v9
	v_fmac_f16_e32 v35, -0.5, v42
	v_sub_f16_e32 v40, v67, v69
	v_add_f16_e32 v47, v34, v75
	v_sub_f16_e32 v51, v10, v11
	v_add_f16_e32 v52, v64, v10
	v_add_f16_e32 v10, v10, v11
	;; [unrolled: 1-line block ×3, first 2 shown]
	v_sub_f16_e32 v60, v6, v7
	v_add_f16_e32 v62, v61, v6
	v_add_f16_e32 v6, v6, v7
	;; [unrolled: 1-line block ×4, first 2 shown]
	v_fmac_f16_e32 v66, -0.5, v2
	v_fmac_f16_e32 v34, -0.5, v49
	;; [unrolled: 1-line block ×5, first 2 shown]
	v_fmamk_f16 v0, v38, 0xbaee, v33
	v_fmac_f16_e32 v33, 0x3aee, v38
	v_add_f16_e32 v2, v41, v73
	v_fmac_f16_e32 v65, -0.5, v8
	v_fmamk_f16 v38, v43, 0xbaee, v35
	v_sub_f16_e32 v53, v75, v77
	v_sub_f16_e32 v63, v79, v81
	;; [unrolled: 1-line block ×3, first 2 shown]
	v_add_f16_e32 v3, v39, v3
	v_add_f16_e32 v9, v44, v9
	;; [unrolled: 1-line block ×3, first 2 shown]
	v_fmac_f16_e32 v64, -0.5, v10
	v_add_f16_e32 v10, v55, v81
	v_fmac_f16_e32 v61, -0.5, v6
	v_add_f16_e32 v6, v67, v85
	v_fmamk_f16 v37, v40, 0x3aee, v66
	v_fmac_f16_e32 v66, 0xbaee, v40
	v_fmac_f16_e32 v35, 0x3aee, v43
	v_fmamk_f16 v40, v51, 0xbaee, v34
	v_fmac_f16_e32 v34, 0x3aee, v51
	v_fmamk_f16 v42, v60, 0xbaee, v32
	;; [unrolled: 2-line block ×3, first 2 shown]
	v_fmac_f16_e32 v31, 0x3aee, v70
	ds_write_b16 v27, v36
	ds_write_b16 v27, v0 offset:18
	ds_write_b16 v27, v33 offset:36
	ds_write_b16 v28, v2
	ds_write_b16 v28, v38 offset:18
	ds_write_b16 v28, v35 offset:36
	;; [unrolled: 3-line block ×5, first 2 shown]
	v_mul_lo_u16 v0, v26, 27
	v_add_f16_e32 v1, v71, v1
	v_fmamk_f16 v39, v45, 0x3aee, v65
	v_add_f16_e32 v11, v52, v11
	v_add_f16_e32 v7, v62, v7
	v_fmac_f16_e32 v65, 0xbaee, v45
	v_fmamk_f16 v41, v53, 0x3aee, v64
	v_fmac_f16_e32 v64, 0xbaee, v53
	v_fmamk_f16 v43, v63, 0x3aee, v61
	;; [unrolled: 2-line block ×3, first 2 shown]
	v_fmac_f16_e32 v22, 0xbaee, v72
	s_waitcnt lgkmcnt(0)
	s_barrier
	buffer_gl0_inv
	ds_read_u16 v35, v15
	ds_read_u16 v10, v15 offset:504
	ds_read_u16 v36, v15 offset:1260
	;; [unrolled: 1-line block ×7, first 2 shown]
	ds_read_u16 v47, v21
	ds_read_u16 v68, v20
	;; [unrolled: 1-line block ×3, first 2 shown]
	ds_read_u16 v70, v15 offset:1764
	ds_read_u16 v71, v15 offset:1638
	;; [unrolled: 1-line block ×4, first 2 shown]
	s_waitcnt lgkmcnt(0)
	s_barrier
	buffer_gl0_inv
	ds_write_b16 v27, v3
	ds_write_b16 v27, v37 offset:18
	ds_write_b16 v27, v66 offset:36
	ds_write_b16 v28, v9
	ds_write_b16 v28, v39 offset:18
	ds_write_b16 v28, v65 offset:36
	;; [unrolled: 3-line block ×5, first 2 shown]
	v_lshlrev_b32_sdwa v1, v56, v57 dst_sel:DWORD dst_unused:UNUSED_PAD src0_sel:DWORD src1_sel:BYTE_0
	v_sub_nc_u16 v0, v30, v0
	s_waitcnt lgkmcnt(0)
	s_barrier
	buffer_gl0_inv
	global_load_dwordx4 v[49:52], v1, s[8:9] offset:96
	v_lshlrev_b32_sdwa v1, v56, v0 dst_sel:DWORD dst_unused:UNUSED_PAD src0_sel:DWORD src1_sel:BYTE_0
	global_load_dwordx4 v[31:34], v54, s[8:9] offset:96
	v_lshlrev_b32_sdwa v3, v23, v58 dst_sel:DWORD dst_unused:UNUSED_PAD src0_sel:DWORD src1_sel:BYTE_0
	v_lshlrev_b32_sdwa v7, v23, v57 dst_sel:DWORD dst_unused:UNUSED_PAD src0_sel:DWORD src1_sel:BYTE_0
	ds_read_u16 v11, v21
	global_load_dwordx4 v[53:56], v1, s[8:9] offset:96
	v_mov_b32_e32 v1, 0x10e
	ds_read_u16 v21, v15 offset:756
	v_lshlrev_b32_sdwa v0, v23, v0 dst_sel:DWORD dst_unused:UNUSED_PAD src0_sel:DWORD src1_sel:BYTE_0
	v_mul_u32_u24_sdwa v2, v25, v1 dst_sel:DWORD dst_unused:UNUSED_PAD src0_sel:WORD_0 src1_sel:DWORD
	v_mul_u32_u24_sdwa v6, v24, v1 dst_sel:DWORD dst_unused:UNUSED_PAD src0_sel:WORD_0 src1_sel:DWORD
	;; [unrolled: 1-line block ×3, first 2 shown]
	v_add3_u32 v2, 0, v2, v3
	v_add3_u32 v1, 0, v6, v7
	ds_read_u16 v24, v15 offset:1134
	ds_read_u16 v25, v15 offset:1512
	;; [unrolled: 1-line block ×9, first 2 shown]
	ds_read_u16 v3, v20
	ds_read_u16 v6, v19
	ds_read_u16 v64, v15 offset:1386
	ds_read_u16 v7, v15
	v_add3_u32 v0, 0, v8, v0
	s_waitcnt vmcnt(0) lgkmcnt(0)
	s_barrier
	buffer_gl0_inv
	v_mul_f16_sdwa v39, v26, v49 dst_sel:DWORD dst_unused:UNUSED_PAD src0_sel:DWORD src1_sel:WORD_1
	v_mul_f16_sdwa v28, v27, v50 dst_sel:DWORD dst_unused:UNUSED_PAD src0_sel:DWORD src1_sel:WORD_1
	;; [unrolled: 1-line block ×18, first 2 shown]
	v_fmac_f16_e32 v43, v47, v31
	v_fmac_f16_e32 v44, v63, v32
	;; [unrolled: 1-line block ×4, first 2 shown]
	v_mul_f16_sdwa v79, v59, v54 dst_sel:DWORD dst_unused:UNUSED_PAD src0_sel:DWORD src1_sel:WORD_1
	v_mul_f16_sdwa v75, v60, v50 dst_sel:DWORD dst_unused:UNUSED_PAD src0_sel:DWORD src1_sel:WORD_1
	;; [unrolled: 1-line block ×5, first 2 shown]
	v_fmac_f16_e32 v39, v10, v49
	v_fmac_f16_e32 v28, v60, v50
	;; [unrolled: 1-line block ×4, first 2 shown]
	v_mul_f16_sdwa v80, v73, v55 dst_sel:DWORD dst_unused:UNUSED_PAD src0_sel:DWORD src1_sel:WORD_1
	v_fmac_f16_e32 v22, v67, v53
	v_fmac_f16_e32 v8, v59, v54
	;; [unrolled: 1-line block ×4, first 2 shown]
	v_fma_f16 v47, v11, v31, -v20
	v_fma_f16 v61, v21, v32, -v41
	;; [unrolled: 1-line block ×6, first 2 shown]
	v_add_f16_e32 v31, v44, v48
	v_sub_f16_e32 v36, v43, v44
	v_sub_f16_e32 v37, v62, v48
	v_fma_f16 v20, v45, v54, -v79
	v_add_f16_e32 v45, v43, v62
	v_fma_f16 v25, v27, v50, -v75
	v_fma_f16 v27, v57, v52, -v77
	;; [unrolled: 1-line block ×4, first 2 shown]
	v_sub_f16_e32 v46, v44, v43
	v_sub_f16_e32 v49, v48, v62
	v_add_f16_e32 v51, v28, v38
	v_add_f16_e32 v56, v39, v40
	v_fma_f16 v21, v64, v55, -v80
	v_add_f16_e32 v32, v35, v43
	v_add_f16_e32 v60, v8, v9
	;; [unrolled: 1-line block ×3, first 2 shown]
	v_sub_f16_e32 v33, v47, v42
	v_sub_f16_e32 v57, v28, v39
	;; [unrolled: 1-line block ×3, first 2 shown]
	v_add_f16_e32 v36, v36, v37
	v_fma_f16 v37, -0.5, v31, v35
	v_sub_f16_e32 v34, v61, v41
	v_fmac_f16_e32 v35, -0.5, v45
	v_add_f16_e32 v50, v69, v39
	v_sub_f16_e32 v52, v24, v27
	v_sub_f16_e32 v53, v25, v26
	v_add_f16_e32 v59, v68, v22
	v_add_f16_e32 v45, v46, v49
	v_fma_f16 v49, -0.5, v51, v69
	v_fmac_f16_e32 v69, -0.5, v56
	v_sub_f16_e32 v54, v39, v28
	v_sub_f16_e32 v55, v40, v38
	;; [unrolled: 1-line block ×6, first 2 shown]
	v_fma_f16 v31, -0.5, v60, v68
	v_fmac_f16_e32 v68, -0.5, v67
	v_add_f16_e32 v32, v32, v44
	v_add_f16_e32 v51, v57, v58
	v_fmamk_f16 v57, v33, 0xbb9c, v37
	v_fmamk_f16 v58, v34, 0x3b9c, v35
	v_fmac_f16_e32 v35, 0xbb9c, v34
	v_add_f16_e32 v56, v59, v8
	v_fmac_f16_e32 v37, 0x3b9c, v33
	v_fmamk_f16 v59, v52, 0xbb9c, v49
	v_fmac_f16_e32 v49, 0x3b9c, v52
	v_fmamk_f16 v60, v53, 0x3b9c, v69
	v_sub_f16_e32 v70, v8, v22
	v_sub_f16_e32 v71, v9, v23
	v_add_f16_e32 v46, v54, v55
	v_add_f16_e32 v54, v65, v66
	;; [unrolled: 1-line block ×3, first 2 shown]
	v_fmac_f16_e32 v69, 0xbb9c, v53
	v_fmamk_f16 v65, v63, 0xbb9c, v31
	v_fmac_f16_e32 v31, 0x3b9c, v63
	v_fmamk_f16 v66, v64, 0x3b9c, v68
	v_fmac_f16_e32 v68, 0xbb9c, v64
	v_add_f16_e32 v32, v32, v48
	v_fmac_f16_e32 v57, 0xb8b4, v34
	v_fmac_f16_e32 v58, 0xb8b4, v33
	;; [unrolled: 1-line block ×7, first 2 shown]
	v_add_f16_e32 v55, v70, v71
	v_add_f16_e32 v50, v50, v38
	;; [unrolled: 1-line block ×3, first 2 shown]
	v_fmac_f16_e32 v69, 0x38b4, v52
	v_fmac_f16_e32 v65, 0xb8b4, v64
	;; [unrolled: 1-line block ×5, first 2 shown]
	v_add_f16_e32 v32, v32, v62
	v_fmac_f16_e32 v57, 0x34f2, v36
	v_fmac_f16_e32 v58, 0x34f2, v45
	;; [unrolled: 1-line block ×7, first 2 shown]
	v_add_f16_e32 v33, v50, v40
	v_add_f16_e32 v34, v56, v23
	v_fmac_f16_e32 v69, 0x34f2, v51
	v_fmac_f16_e32 v65, 0x34f2, v54
	;; [unrolled: 1-line block ×5, first 2 shown]
	ds_write_b16 v2, v32
	ds_write_b16 v2, v57 offset:54
	ds_write_b16 v2, v58 offset:108
	ds_write_b16 v2, v35 offset:162
	ds_write_b16 v2, v37 offset:216
	ds_write_b16 v1, v33
	ds_write_b16 v1, v59 offset:54
	ds_write_b16 v1, v60 offset:108
	ds_write_b16 v1, v69 offset:162
	ds_write_b16 v1, v49 offset:216
	;; [unrolled: 5-line block ×3, first 2 shown]
	s_waitcnt lgkmcnt(0)
	s_barrier
	buffer_gl0_inv
	ds_read_u16 v46, v15
	ds_read_u16 v56, v15 offset:270
	ds_read_u16 v55, v15 offset:1080
	ds_read_u16 v50, v15 offset:936
	ds_read_u16 v58, v15 offset:810
	ds_read_u16 v49, v15 offset:666
	ds_read_u16 v57, v15 offset:540
	ds_read_u16 v52, v15 offset:396
	ds_read_u16 v45, v19
	ds_read_u16 v54, v15 offset:1746
	ds_read_u16 v60, v15 offset:1620
	ds_read_u16 v51, v15 offset:1476
	ds_read_u16 v59, v15 offset:1350
	ds_read_u16 v53, v15 offset:1206
                                        ; implicit-def: $vgpr34
                                        ; implicit-def: $vgpr35
                                        ; implicit-def: $vgpr33
                                        ; implicit-def: $vgpr36
                                        ; implicit-def: $vgpr32
                                        ; implicit-def: $vgpr37
	s_and_saveexec_b32 s1, s0
	s_cbranch_execz .LBB0_15
; %bb.14:
	ds_read_u16 v34, v15 offset:522
	ds_read_u16 v35, v15 offset:792
	ds_read_u16 v37, v15 offset:1062
	ds_read_u16 v33, v15 offset:1332
	ds_read_u16 v32, v15 offset:1602
	ds_read_u16 v31, v16
	ds_read_u16 v36, v15 offset:1872
.LBB0_15:
	s_or_b32 exec_lo, exec_lo, s1
	v_add_f16_e32 v19, v7, v47
	v_add_f16_e32 v18, v61, v41
	v_sub_f16_e32 v43, v43, v62
	v_add_f16_e32 v63, v47, v42
	v_sub_f16_e32 v44, v44, v48
	v_add_f16_e32 v19, v19, v61
	v_fma_f16 v18, -0.5, v18, v7
	v_sub_f16_e32 v48, v47, v61
	v_sub_f16_e32 v62, v42, v41
	;; [unrolled: 1-line block ×3, first 2 shown]
	v_add_f16_e32 v19, v19, v41
	v_fmamk_f16 v61, v43, 0x3b9c, v18
	v_fmac_f16_e32 v7, -0.5, v63
	v_fmac_f16_e32 v18, 0xbb9c, v43
	v_sub_f16_e32 v41, v41, v42
	v_add_f16_e32 v19, v19, v42
	v_add_f16_e32 v42, v25, v26
	;; [unrolled: 1-line block ×3, first 2 shown]
	v_fmac_f16_e32 v61, 0x38b4, v44
	v_fmamk_f16 v62, v44, 0xbb9c, v7
	v_fmac_f16_e32 v18, 0xb8b4, v44
	v_fmac_f16_e32 v7, 0x3b9c, v44
	v_add_f16_e32 v44, v6, v24
	v_fma_f16 v42, -0.5, v42, v6
	v_sub_f16_e32 v39, v39, v40
	v_fmac_f16_e32 v62, 0x38b4, v43
	v_add_f16_e32 v41, v47, v41
	v_fmac_f16_e32 v7, 0xb8b4, v43
	v_add_f16_e32 v40, v44, v25
	v_fmamk_f16 v43, v39, 0x3b9c, v42
	v_sub_f16_e32 v28, v28, v38
	v_sub_f16_e32 v38, v24, v25
	;; [unrolled: 1-line block ×3, first 2 shown]
	v_fmac_f16_e32 v42, 0xbb9c, v39
	v_add_f16_e32 v47, v24, v27
	v_add_f16_e32 v40, v40, v26
	v_fmac_f16_e32 v43, 0x38b4, v28
	v_add_f16_e32 v38, v38, v44
	v_fmac_f16_e32 v42, 0xb8b4, v28
	v_fmac_f16_e32 v6, -0.5, v47
	v_sub_f16_e32 v24, v25, v24
	v_sub_f16_e32 v25, v26, v27
	v_add_f16_e32 v26, v3, v11
	v_fmac_f16_e32 v62, 0x34f2, v41
	v_fmac_f16_e32 v7, 0x34f2, v41
	;; [unrolled: 1-line block ×4, first 2 shown]
	v_fmamk_f16 v41, v28, 0xbb9c, v6
	v_add_f16_e32 v38, v20, v21
	v_fmac_f16_e32 v6, 0x3b9c, v28
	v_sub_f16_e32 v22, v22, v23
	v_add_f16_e32 v23, v24, v25
	v_add_f16_e32 v24, v26, v20
	;; [unrolled: 1-line block ×3, first 2 shown]
	v_fma_f16 v38, -0.5, v38, v3
	v_fmac_f16_e32 v41, 0x38b4, v39
	v_fmac_f16_e32 v6, 0xb8b4, v39
	v_sub_f16_e32 v8, v8, v9
	v_fmac_f16_e32 v3, -0.5, v26
	v_fmamk_f16 v25, v22, 0x3b9c, v38
	v_fmac_f16_e32 v41, 0x34f2, v23
	v_fmac_f16_e32 v6, 0x34f2, v23
	v_add_f16_e32 v9, v24, v21
	v_sub_f16_e32 v23, v11, v20
	v_sub_f16_e32 v24, v10, v21
	v_fmac_f16_e32 v38, 0xbb9c, v22
	v_fmamk_f16 v26, v8, 0xbb9c, v3
	v_sub_f16_e32 v11, v20, v11
	v_sub_f16_e32 v20, v21, v10
	v_fmac_f16_e32 v3, 0x3b9c, v8
	v_fmac_f16_e32 v25, 0x38b4, v8
	v_add_f16_e32 v21, v23, v24
	v_fmac_f16_e32 v38, 0xb8b4, v8
	v_fmac_f16_e32 v26, 0x38b4, v22
	v_add_f16_e32 v8, v11, v20
	v_fmac_f16_e32 v3, 0xb8b4, v22
	v_fmac_f16_e32 v61, 0x34f2, v48
	v_fmac_f16_e32 v18, 0x34f2, v48
	v_add_f16_e32 v40, v40, v27
	v_add_f16_e32 v9, v9, v10
	v_fmac_f16_e32 v25, 0x34f2, v21
	v_fmac_f16_e32 v38, 0x34f2, v21
	;; [unrolled: 1-line block ×4, first 2 shown]
	s_waitcnt lgkmcnt(0)
	s_barrier
	buffer_gl0_inv
	ds_write_b16 v2, v19
	ds_write_b16 v2, v61 offset:54
	ds_write_b16 v2, v62 offset:108
	ds_write_b16 v2, v7 offset:162
	ds_write_b16 v2, v18 offset:216
	ds_write_b16 v1, v40
	ds_write_b16 v1, v43 offset:54
	ds_write_b16 v1, v41 offset:108
	ds_write_b16 v1, v6 offset:162
	ds_write_b16 v1, v42 offset:216
	;; [unrolled: 5-line block ×3, first 2 shown]
	s_waitcnt lgkmcnt(0)
	s_barrier
	buffer_gl0_inv
	ds_read_u16 v48, v15
	ds_read_u16 v69, v15 offset:270
	v_add_nc_u32_e32 v0, v14, v17
	ds_read_u16 v70, v15 offset:1080
	ds_read_u16 v64, v15 offset:936
	;; [unrolled: 1-line block ×6, first 2 shown]
	ds_read_u16 v47, v0
	ds_read_u16 v67, v15 offset:1746
	ds_read_u16 v73, v15 offset:1620
	;; [unrolled: 1-line block ×5, first 2 shown]
                                        ; implicit-def: $vgpr41
                                        ; implicit-def: $vgpr42
                                        ; implicit-def: $vgpr39
                                        ; implicit-def: $vgpr43
                                        ; implicit-def: $vgpr40
                                        ; implicit-def: $vgpr44
	s_and_saveexec_b32 s1, s0
	s_cbranch_execz .LBB0_17
; %bb.16:
	ds_read_u16 v41, v15 offset:522
	ds_read_u16 v42, v15 offset:792
	;; [unrolled: 1-line block ×5, first 2 shown]
	ds_read_u16 v38, v16
	ds_read_u16 v43, v15 offset:1872
.LBB0_17:
	s_or_b32 exec_lo, exec_lo, s1
	s_and_saveexec_b32 s1, vcc_lo
	s_cbranch_execz .LBB0_20
; %bb.18:
	v_mul_u32_u24_e32 v0, 6, v29
	v_mov_b32_e32 v7, 0
	v_add_nc_u32_e32 v89, 0x87, v29
	v_add_nc_u32_e32 v94, 0x2a3, v29
	v_mad_u64_u32 v[19:20], null, s2, v12, 0
	v_lshlrev_b32_e32 v6, 2, v0
	v_mad_u64_u32 v[21:22], null, s2, v89, 0
	v_add_nc_u32_e32 v91, 0x10e, v29
	s_clause 0x1
	global_load_dwordx4 v[0:3], v6, s[8:9] offset:528
	global_load_dwordx2 v[8:9], v6, s[8:9] offset:544
	v_mul_i32_i24_e32 v6, 6, v13
	v_add_nc_u32_e32 v92, 0x195, v29
	v_add_nc_u32_e32 v93, 0x21c, v29
	;; [unrolled: 1-line block ×3, first 2 shown]
	v_mad_u64_u32 v[81:82], null, s2, v94, 0
	v_lshlrev_b64 v[10:11], 2, v[6:7]
	v_add_nc_u32_e32 v96, 0xc6, v29
	v_mad_u64_u32 v[23:24], null, s2, v91, 0
	v_mad_u64_u32 v[25:26], null, s2, v92, 0
	v_add_co_u32 v10, vcc_lo, s8, v10
	v_add_co_ci_u32_e32 v11, vcc_lo, s9, v11, vcc_lo
	s_clause 0x1
	global_load_dwordx4 v[75:78], v[10:11], off offset:528
	global_load_dwordx2 v[79:80], v[10:11], off offset:544
	v_mov_b32_e32 v10, v20
	v_mov_b32_e32 v11, v22
	v_mad_u64_u32 v[27:28], null, s2, v93, 0
	v_mad_u64_u32 v[83:84], null, s2, v95, 0
	;; [unrolled: 1-line block ×5, first 2 shown]
	v_mov_b32_e32 v12, v82
	v_mov_b32_e32 v13, v24
	;; [unrolled: 1-line block ×4, first 2 shown]
	v_add_nc_u32_e32 v98, 0x1d4, v29
	v_mad_u64_u32 v[89:90], null, s3, v89, v[11:12]
	v_mov_b32_e32 v11, v84
	v_mad_u64_u32 v[90:91], null, s3, v91, v[13:14]
	v_mov_b32_e32 v13, v86
	v_mov_b32_e32 v6, v18
	v_add_nc_u32_e32 v99, 0x25b, v29
	v_mad_u64_u32 v[91:92], null, s3, v92, v[14:15]
	v_add_co_u32 v61, vcc_lo, s12, v4
	v_mad_u64_u32 v[92:93], null, s3, v93, v[10:11]
	v_mad_u64_u32 v[93:94], null, s3, v94, v[12:13]
	v_add_co_ci_u32_e32 v62, vcc_lo, s13, v5, vcc_lo
	v_add_nc_u32_e32 v97, 0x14d, v29
	v_mad_u64_u32 v[4:5], null, s2, v98, 0
	v_mad_u64_u32 v[94:95], null, s3, v95, v[11:12]
	;; [unrolled: 1-line block ×7, first 2 shown]
	v_mov_b32_e32 v18, v11
	v_mov_b32_e32 v22, v89
	;; [unrolled: 1-line block ×5, first 2 shown]
	v_lshlrev_b64 v[89:90], 2, v[17:18]
	v_mov_b32_e32 v26, v91
	v_mad_u64_u32 v[13:14], null, s3, v99, v[6:7]
	v_add_nc_u32_e32 v14, 0x2e2, v29
	v_mad_u64_u32 v[96:97], null, s3, v97, v[10:11]
	v_mov_b32_e32 v82, v93
	v_mov_b32_e32 v28, v92
	v_mad_u64_u32 v[10:11], null, s2, v14, 0
	v_mov_b32_e32 v84, v94
	v_mov_b32_e32 v86, v95
	;; [unrolled: 1-line block ×4, first 2 shown]
	v_lshlrev_b64 v[21:22], 2, v[21:22]
	v_lshlrev_b64 v[23:24], 2, v[23:24]
	v_mov_b32_e32 v6, v11
	v_lshlrev_b64 v[17:18], 2, v[87:88]
	v_add_co_u32 v87, vcc_lo, v61, v89
	v_add_co_ci_u32_e32 v88, vcc_lo, v62, v90, vcc_lo
	v_lshlrev_b64 v[19:20], 2, v[19:20]
	v_lshlrev_b64 v[25:26], 2, v[25:26]
	;; [unrolled: 1-line block ×4, first 2 shown]
	v_mad_u64_u32 v[14:15], null, s3, v14, v[6:7]
	v_add_co_u32 v19, vcc_lo, v61, v19
	v_add_co_ci_u32_e32 v20, vcc_lo, v62, v20, vcc_lo
	v_add_co_u32 v21, vcc_lo, v61, v21
	v_add_co_ci_u32_e32 v22, vcc_lo, v62, v22, vcc_lo
	;; [unrolled: 2-line block ×3, first 2 shown]
	v_add_co_u32 v25, vcc_lo, v61, v25
	v_add_nc_u32_e32 v6, 0x369, v29
	v_add_co_ci_u32_e32 v26, vcc_lo, v62, v26, vcc_lo
	v_lshlrev_b64 v[83:84], 2, v[83:84]
	v_add_co_u32 v27, vcc_lo, v61, v27
	v_add_co_ci_u32_e32 v28, vcc_lo, v62, v28, vcc_lo
	v_lshlrev_b64 v[85:86], 2, v[85:86]
	v_add_co_u32 v81, vcc_lo, v61, v81
	v_mad_u64_u32 v[15:16], null, s2, v6, 0
	v_add_co_ci_u32_e32 v82, vcc_lo, v62, v82, vcc_lo
	v_add_co_u32 v83, vcc_lo, v61, v83
	v_add_co_ci_u32_e32 v84, vcc_lo, v62, v84, vcc_lo
	v_add_co_u32 v85, vcc_lo, v61, v85
	v_add_co_ci_u32_e32 v86, vcc_lo, v62, v86, vcc_lo
	s_waitcnt vmcnt(3)
	v_lshrrev_b32_e32 v11, 16, v0
	v_lshrrev_b32_e32 v91, 16, v2
	v_mul_f16_e32 v93, v56, v0
	s_waitcnt vmcnt(2)
	v_lshrrev_b32_e32 v89, 16, v9
	v_mul_f16_e32 v90, v60, v9
	v_lshrrev_b32_e32 v92, 16, v3
	v_mul_f16_e32 v94, v58, v2
	;; [unrolled: 2-line block ×3, first 2 shown]
	v_mul_f16_e32 v97, v59, v8
	v_lshrrev_b32_e32 v98, 16, v1
	v_mul_f16_e32 v99, v57, v1
	s_waitcnt lgkmcnt(12)
	v_fmac_f16_e32 v93, v69, v11
	v_mul_f16_e32 v11, v56, v11
	v_mul_f16_e32 v56, v58, v91
	s_waitcnt lgkmcnt(3)
	v_fmac_f16_e32 v90, v73, v89
	v_mul_f16_e32 v60, v60, v89
	v_fmac_f16_e32 v94, v72, v91
	v_fmac_f16_e32 v96, v70, v92
	v_mul_f16_e32 v55, v55, v92
	s_waitcnt lgkmcnt(1)
	v_fmac_f16_e32 v97, v74, v95
	v_mul_f16_e32 v58, v59, v95
	v_fmac_f16_e32 v99, v71, v98
	v_mul_f16_e32 v57, v57, v98
	s_waitcnt vmcnt(1)
	v_lshrrev_b32_e32 v59, 16, v75
	v_lshrrev_b32_e32 v89, 16, v76
	;; [unrolled: 1-line block ×4, first 2 shown]
	s_waitcnt vmcnt(0)
	v_lshrrev_b32_e32 v98, 16, v79
	v_lshrrev_b32_e32 v100, 16, v80
	v_mul_f16_e32 v102, v50, v77
	v_mul_f16_e32 v103, v53, v78
	v_fma_f16 v0, v69, v0, -v11
	v_mul_f16_e32 v11, v49, v76
	v_fma_f16 v2, v72, v2, -v56
	v_mul_f16_e32 v56, v51, v79
	v_mul_f16_e32 v95, v52, v75
	;; [unrolled: 1-line block ×3, first 2 shown]
	v_fma_f16 v3, v70, v3, -v55
	v_fma_f16 v1, v71, v1, -v57
	;; [unrolled: 1-line block ×4, first 2 shown]
	v_sub_f16_e32 v55, v93, v90
	v_add_f16_e32 v57, v93, v90
	v_sub_f16_e32 v58, v96, v94
	v_sub_f16_e32 v69, v99, v97
	v_add_f16_e32 v70, v99, v97
	v_mul_f16_e32 v54, v54, v100
	v_mul_f16_e32 v52, v52, v59
	v_fmac_f16_e32 v102, v64, v91
	v_mul_f16_e32 v50, v50, v91
	s_waitcnt lgkmcnt(0)
	v_fmac_f16_e32 v103, v66, v92
	v_mul_f16_e32 v53, v53, v92
	v_fmac_f16_e32 v11, v63, v89
	v_fmac_f16_e32 v56, v68, v98
	v_mul_f16_e32 v51, v51, v98
	v_mul_f16_e32 v49, v49, v89
	v_add_f16_e32 v60, v96, v94
	v_fmac_f16_e32 v101, v67, v100
	v_fmac_f16_e32 v95, v65, v59
	v_sub_f16_e32 v59, v55, v58
	v_sub_f16_e32 v71, v58, v69
	v_add_f16_e32 v58, v58, v69
	v_add_f16_e32 v72, v0, v9
	;; [unrolled: 1-line block ×3, first 2 shown]
	v_sub_f16_e32 v0, v0, v9
	v_add_f16_e32 v9, v1, v8
	v_sub_f16_e32 v2, v3, v2
	v_sub_f16_e32 v1, v1, v8
	v_add_f16_e32 v8, v57, v70
	v_sub_f16_e32 v69, v69, v55
	v_fma_f16 v54, v67, v80, -v54
	v_fma_f16 v51, v68, v79, -v51
	;; [unrolled: 1-line block ×4, first 2 shown]
	v_sub_f16_e32 v64, v103, v102
	v_fma_f16 v53, v66, v78, -v53
	v_sub_f16_e32 v66, v11, v56
	v_fma_f16 v49, v63, v76, -v49
	v_sub_f16_e32 v3, v57, v60
	v_sub_f16_e32 v57, v70, v57
	;; [unrolled: 1-line block ×4, first 2 shown]
	v_add_f16_e32 v63, v95, v101
	v_add_f16_e32 v67, v103, v102
	;; [unrolled: 1-line block ×3, first 2 shown]
	v_mul_f16_e32 v56, 0x3846, v71
	v_add_f16_e32 v71, v72, v9
	v_add_f16_e32 v8, v60, v8
	v_sub_f16_e32 v60, v0, v2
	v_sub_f16_e32 v75, v2, v1
	v_add_f16_e32 v2, v2, v1
	v_mul_f16_e32 v76, 0xbb00, v69
	v_sub_f16_e32 v1, v1, v0
	v_sub_f16_e32 v77, v64, v66
	v_add_f16_e32 v78, v52, v54
	v_sub_f16_e32 v52, v52, v54
	v_add_f16_e32 v54, v49, v51
	v_add_f16_e32 v55, v55, v58
	v_sub_f16_e32 v58, v72, v73
	v_sub_f16_e32 v68, v73, v9
	v_mul_f16_e32 v74, 0x3a52, v3
	v_mul_f16_e32 v70, 0x2b26, v70
	v_sub_f16_e32 v9, v9, v72
	v_sub_f16_e32 v72, v65, v64
	v_add_f16_e32 v64, v64, v66
	v_add_f16_e32 v79, v53, v50
	v_sub_f16_e32 v50, v53, v50
	v_sub_f16_e32 v53, v63, v67
	v_sub_f16_e32 v49, v49, v51
	v_add_f16_e32 v51, v63, v11
	v_sub_f16_e32 v63, v11, v63
	v_sub_f16_e32 v11, v67, v11
	v_sub_f16_e32 v66, v66, v65
	v_add_f16_e32 v71, v73, v71
	v_fmamk_f16 v73, v59, 0xb574, v56
	v_add_f16_e32 v46, v46, v8
	v_mul_f16_e32 v75, 0x3846, v75
	v_fma_f16 v59, v59, 0x3574, -v76
	v_mul_f16_e32 v76, 0xbb00, v1
	v_fma_f16 v56, v69, 0xbb00, -v56
	v_mul_f16_e32 v69, 0x3846, v77
	v_add_f16_e32 v77, v78, v54
	v_add_f16_e32 v0, v0, v2
	v_mul_f16_e32 v2, 0x3a52, v58
	v_mul_f16_e32 v68, 0x2b26, v68
	v_fmamk_f16 v3, v3, 0x3a52, v70
	v_fma_f16 v74, v57, 0xb9e0, -v74
	v_fma_f16 v57, v57, 0x39e0, -v70
	v_add_f16_e32 v64, v65, v64
	v_sub_f16_e32 v65, v78, v79
	v_sub_f16_e32 v70, v79, v54
	v_add_f16_e32 v51, v67, v51
	v_mul_f16_e32 v67, 0x3a52, v53
	v_mul_f16_e32 v11, 0x2b26, v11
	v_sub_f16_e32 v54, v54, v78
	v_sub_f16_e32 v78, v52, v50
	;; [unrolled: 1-line block ×3, first 2 shown]
	v_add_f16_e32 v50, v50, v49
	v_mul_f16_e32 v89, 0xbb00, v66
	v_sub_f16_e32 v49, v49, v52
	v_fmac_f16_e32 v73, 0xb70e, v55
	v_fmac_f16_e32 v59, 0xb70e, v55
	;; [unrolled: 1-line block ×3, first 2 shown]
	v_add_f16_e32 v48, v48, v71
	v_fmamk_f16 v8, v8, 0xbcab, v46
	v_fma_f16 v55, v60, 0x3574, -v76
	v_fmamk_f16 v60, v60, 0xb574, v75
	v_fma_f16 v1, v1, 0xbb00, -v75
	v_add_f16_e32 v75, v79, v77
	v_fmamk_f16 v58, v58, 0x3a52, v68
	v_fma_f16 v2, v9, 0xb9e0, -v2
	v_fma_f16 v9, v9, 0x39e0, -v68
	v_fmamk_f16 v68, v72, 0xb574, v69
	v_mul_f16_e32 v76, 0x3a52, v65
	v_mul_f16_e32 v70, 0x2b26, v70
	v_fmamk_f16 v53, v53, 0x3a52, v11
	v_add_f16_e32 v45, v45, v51
	v_mul_f16_e32 v77, 0x3846, v80
	v_add_f16_e32 v50, v52, v50
	v_fma_f16 v52, v72, 0x3574, -v89
	v_fma_f16 v67, v63, 0xb9e0, -v67
	v_mul_f16_e32 v72, 0xbb00, v49
	v_fma_f16 v66, v66, 0xbb00, -v69
	v_fma_f16 v11, v63, 0x39e0, -v11
	v_fmamk_f16 v63, v71, 0xbcab, v48
	v_add_f16_e32 v3, v3, v8
	v_fmac_f16_e32 v60, 0xb70e, v0
	v_add_f16_e32 v69, v74, v8
	v_fmac_f16_e32 v55, 0xb70e, v0
	v_fmac_f16_e32 v1, 0xb70e, v0
	v_add_f16_e32 v0, v57, v8
	v_pack_b32_f16 v8, v46, v48
	v_add_f16_e32 v47, v47, v75
	v_fmamk_f16 v46, v65, 0x3a52, v70
	v_fmamk_f16 v48, v51, 0xbcab, v45
	;; [unrolled: 1-line block ×3, first 2 shown]
	v_fma_f16 v57, v54, 0xb9e0, -v76
	v_fma_f16 v65, v78, 0x3574, -v72
	;; [unrolled: 1-line block ×4, first 2 shown]
	v_add_f16_e32 v58, v58, v63
	v_add_f16_e32 v9, v9, v63
	global_store_dword v[87:88], v8, off
	v_fmamk_f16 v8, v75, 0xbcab, v47
	v_add_f16_e32 v2, v2, v63
	v_fmac_f16_e32 v68, 0xb70e, v64
	v_fmac_f16_e32 v52, 0xb70e, v64
	v_fmac_f16_e32 v66, 0xb70e, v64
	v_sub_f16_e32 v64, v3, v60
	v_sub_f16_e32 v70, v69, v55
	v_add_f16_e32 v63, v1, v0
	v_sub_f16_e32 v0, v0, v1
	v_add_f16_e32 v1, v55, v69
	v_add_f16_e32 v3, v60, v3
	;; [unrolled: 1-line block ×3, first 2 shown]
	v_fmac_f16_e32 v51, 0xb70e, v50
	v_add_f16_e32 v55, v67, v48
	v_fmac_f16_e32 v65, 0xb70e, v50
	v_fmac_f16_e32 v49, 0xb70e, v50
	v_add_f16_e32 v11, v11, v48
	v_sub_f16_e32 v50, v9, v56
	v_add_f16_e32 v9, v56, v9
	v_sub_f16_e32 v56, v58, v73
	v_add_f16_e32 v46, v46, v8
	v_add_f16_e32 v57, v57, v8
	;; [unrolled: 1-line block ×4, first 2 shown]
	v_sub_f16_e32 v2, v2, v59
	v_pack_b32_f16 v45, v45, v47
	v_add_f16_e32 v47, v73, v58
	v_sub_f16_e32 v58, v53, v51
	v_sub_f16_e32 v59, v55, v65
	v_add_f16_e32 v54, v49, v11
	v_sub_f16_e32 v49, v11, v49
	v_add_f16_e32 v11, v65, v55
	v_add_f16_e32 v51, v51, v53
	v_pack_b32_f16 v3, v3, v56
	v_sub_f16_e32 v53, v8, v66
	v_add_f16_e32 v55, v66, v8
	v_sub_f16_e32 v8, v46, v68
	v_pack_b32_f16 v1, v1, v2
	v_pack_b32_f16 v2, v63, v50
	;; [unrolled: 1-line block ×5, first 2 shown]
	global_store_dword v[21:22], v3, off
	global_store_dword v[23:24], v1, off
	;; [unrolled: 1-line block ×3, first 2 shown]
	v_pack_b32_f16 v0, v51, v8
	v_lshlrev_b64 v[3:4], 2, v[4:5]
	global_store_dword v[27:28], v2, off
	global_store_dword v[81:82], v9, off
	;; [unrolled: 1-line block ×5, first 2 shown]
	v_mov_b32_e32 v2, v16
	v_add_f16_e32 v48, v68, v46
	v_sub_f16_e32 v46, v57, v52
	v_add_co_u32 v0, vcc_lo, v61, v17
	v_mad_u64_u32 v[5:6], null, s3, v6, v[2:3]
	v_pack_b32_f16 v17, v11, v46
	v_lshlrev_b64 v[8:9], 2, v[12:13]
	v_mov_b32_e32 v11, v14
	v_add_co_ci_u32_e32 v1, vcc_lo, v62, v18, vcc_lo
	v_add_co_u32 v2, vcc_lo, v61, v3
	v_mov_b32_e32 v16, v5
	v_add_co_ci_u32_e32 v3, vcc_lo, v62, v4, vcc_lo
	v_lshlrev_b64 v[10:11], 2, v[10:11]
	v_add_co_u32 v4, vcc_lo, v61, v8
	v_add_co_ci_u32_e32 v5, vcc_lo, v62, v9, vcc_lo
	v_lshlrev_b64 v[8:9], 2, v[15:16]
	v_add_f16_e32 v50, v52, v57
	v_add_co_u32 v10, vcc_lo, v61, v10
	v_pack_b32_f16 v6, v49, v55
	v_add_co_ci_u32_e32 v11, vcc_lo, v62, v11, vcc_lo
	v_pack_b32_f16 v12, v54, v53
	v_add_co_u32 v8, vcc_lo, v61, v8
	v_pack_b32_f16 v13, v59, v50
	v_add_co_ci_u32_e32 v9, vcc_lo, v62, v9, vcc_lo
	v_pack_b32_f16 v14, v58, v48
	global_store_dword v[0:1], v17, off
	global_store_dword v[2:3], v6, off
	;; [unrolled: 1-line block ×5, first 2 shown]
	s_and_b32 exec_lo, exec_lo, s0
	s_cbranch_execz .LBB0_20
; %bb.19:
	v_add_nc_u32_e32 v0, -9, v29
	v_add_nc_u32_e32 v20, 0x7e, v29
	v_add_nc_u32_e32 v22, 0x105, v29
	;; [unrolled: 1-line block ×4, first 2 shown]
	v_cndmask_b32_e64 v0, v0, v30, s0
	v_add_nc_u32_e32 v25, 0x29a, v29
	v_mad_u64_u32 v[8:9], null, s2, v22, 0
	v_add_nc_u32_e32 v26, 0x321, v29
	v_mul_i32_i24_e32 v6, 6, v0
	v_mad_u64_u32 v[10:11], null, s2, v23, 0
	v_add_nc_u32_e32 v27, 0x3a8, v29
	v_mad_u64_u32 v[12:13], null, s2, v24, 0
	v_lshlrev_b64 v[0:1], 2, v[6:7]
	v_mad_u64_u32 v[6:7], null, s2, v20, 0
	v_mad_u64_u32 v[14:15], null, s2, v25, 0
	;; [unrolled: 1-line block ×3, first 2 shown]
	v_add_co_u32 v4, vcc_lo, s8, v0
	v_add_co_ci_u32_e32 v5, vcc_lo, s9, v1, vcc_lo
	v_mad_u64_u32 v[18:19], null, s2, v27, 0
	s_clause 0x1
	global_load_dwordx4 v[0:3], v[4:5], off offset:528
	global_load_dwordx2 v[4:5], v[4:5], off offset:544
	v_mad_u64_u32 v[20:21], null, s3, v20, v[7:8]
	v_mad_u64_u32 v[21:22], null, s3, v22, v[9:10]
	;; [unrolled: 1-line block ×7, first 2 shown]
	v_mov_b32_e32 v7, v20
	v_mov_b32_e32 v9, v21
	;; [unrolled: 1-line block ×7, first 2 shown]
	v_lshlrev_b64 v[6:7], 2, v[6:7]
	v_lshlrev_b64 v[8:9], 2, v[8:9]
	;; [unrolled: 1-line block ×6, first 2 shown]
	v_add_co_u32 v6, vcc_lo, v61, v6
	v_add_co_ci_u32_e32 v7, vcc_lo, v62, v7, vcc_lo
	v_add_co_u32 v8, vcc_lo, v61, v8
	v_add_co_ci_u32_e32 v9, vcc_lo, v62, v9, vcc_lo
	;; [unrolled: 2-line block ×4, first 2 shown]
	v_lshlrev_b64 v[18:19], 2, v[18:19]
	v_add_co_u32 v14, vcc_lo, v61, v14
	v_add_co_ci_u32_e32 v15, vcc_lo, v62, v15, vcc_lo
	v_add_co_u32 v16, vcc_lo, v61, v16
	v_add_co_ci_u32_e32 v17, vcc_lo, v62, v17, vcc_lo
	;; [unrolled: 2-line block ×3, first 2 shown]
	s_waitcnt vmcnt(1)
	v_mul_f16_sdwa v20, v41, v0 dst_sel:DWORD dst_unused:UNUSED_PAD src0_sel:DWORD src1_sel:WORD_1
	v_mul_f16_sdwa v21, v34, v0 dst_sel:DWORD dst_unused:UNUSED_PAD src0_sel:DWORD src1_sel:WORD_1
	;; [unrolled: 1-line block ×4, first 2 shown]
	s_waitcnt vmcnt(0)
	v_mul_f16_sdwa v28, v40, v4 dst_sel:DWORD dst_unused:UNUSED_PAD src0_sel:DWORD src1_sel:WORD_1
	v_mul_f16_sdwa v29, v32, v4 dst_sel:DWORD dst_unused:UNUSED_PAD src0_sel:DWORD src1_sel:WORD_1
	v_mul_f16_sdwa v30, v43, v5 dst_sel:DWORD dst_unused:UNUSED_PAD src0_sel:DWORD src1_sel:WORD_1
	v_mul_f16_sdwa v45, v36, v5 dst_sel:DWORD dst_unused:UNUSED_PAD src0_sel:DWORD src1_sel:WORD_1
	v_mul_f16_sdwa v24, v44, v2 dst_sel:DWORD dst_unused:UNUSED_PAD src0_sel:DWORD src1_sel:WORD_1
	v_mul_f16_sdwa v25, v37, v2 dst_sel:DWORD dst_unused:UNUSED_PAD src0_sel:DWORD src1_sel:WORD_1
	v_mul_f16_sdwa v26, v39, v3 dst_sel:DWORD dst_unused:UNUSED_PAD src0_sel:DWORD src1_sel:WORD_1
	v_mul_f16_sdwa v27, v33, v3 dst_sel:DWORD dst_unused:UNUSED_PAD src0_sel:DWORD src1_sel:WORD_1
	v_fmac_f16_e32 v20, v34, v0
	v_fma_f16 v0, v41, v0, -v21
	v_fmac_f16_e32 v22, v35, v1
	v_fma_f16 v1, v42, v1, -v23
	;; [unrolled: 2-line block ×6, first 2 shown]
	v_add_f16_e32 v21, v20, v30
	v_add_f16_e32 v23, v0, v5
	v_sub_f16_e32 v0, v0, v5
	v_add_f16_e32 v5, v22, v28
	v_add_f16_e32 v25, v1, v4
	v_sub_f16_e32 v20, v20, v30
	v_sub_f16_e32 v22, v22, v28
	;; [unrolled: 1-line block ×3, first 2 shown]
	v_add_f16_e32 v4, v24, v26
	v_add_f16_e32 v27, v2, v3
	v_sub_f16_e32 v24, v26, v24
	v_sub_f16_e32 v2, v3, v2
	v_add_f16_e32 v3, v5, v21
	v_add_f16_e32 v26, v25, v23
	v_sub_f16_e32 v28, v5, v21
	v_sub_f16_e32 v29, v25, v23
	;; [unrolled: 1-line block ×6, first 2 shown]
	v_add_f16_e32 v30, v24, v22
	v_add_f16_e32 v32, v2, v1
	v_sub_f16_e32 v33, v24, v22
	v_sub_f16_e32 v34, v2, v1
	;; [unrolled: 1-line block ×4, first 2 shown]
	v_add_f16_e32 v3, v4, v3
	v_add_f16_e32 v4, v27, v26
	v_sub_f16_e32 v24, v20, v24
	v_sub_f16_e32 v2, v0, v2
	v_add_f16_e32 v20, v30, v20
	v_add_f16_e32 v0, v32, v0
	v_mul_f16_e32 v21, 0x3a52, v21
	v_mul_f16_e32 v23, 0x3a52, v23
	;; [unrolled: 1-line block ×8, first 2 shown]
	v_add_f16_e32 v31, v31, v3
	v_add_f16_e32 v35, v38, v4
	v_fmamk_f16 v5, v5, 0x2b26, v21
	v_fmamk_f16 v25, v25, 0x2b26, v23
	v_fma_f16 v26, v28, 0x39e0, -v26
	v_fma_f16 v27, v29, 0x39e0, -v27
	;; [unrolled: 1-line block ×4, first 2 shown]
	v_fmamk_f16 v28, v24, 0xb574, v30
	v_fmamk_f16 v29, v2, 0xb574, v32
	v_fma_f16 v22, v22, 0xbb00, -v30
	v_fma_f16 v1, v1, 0xbb00, -v32
	;; [unrolled: 1-line block ×4, first 2 shown]
	v_fmamk_f16 v3, v3, 0xbcab, v31
	v_fmamk_f16 v4, v4, 0xbcab, v35
	v_fmac_f16_e32 v28, 0xb70e, v20
	v_fmac_f16_e32 v29, 0xb70e, v0
	;; [unrolled: 1-line block ×6, first 2 shown]
	v_pack_b32_f16 v0, v31, v35
	v_add_f16_e32 v5, v5, v3
	v_add_f16_e32 v20, v25, v4
	;; [unrolled: 1-line block ×6, first 2 shown]
	global_store_dword v[6:7], v0, off
	v_add_f16_e32 v0, v29, v5
	v_sub_f16_e32 v6, v20, v28
	v_add_f16_e32 v7, v2, v3
	v_sub_f16_e32 v21, v4, v24
	v_sub_f16_e32 v23, v25, v1
	v_add_f16_e32 v27, v22, v26
	v_add_f16_e32 v1, v1, v25
	v_sub_f16_e32 v22, v26, v22
	v_sub_f16_e32 v2, v3, v2
	v_add_f16_e32 v3, v24, v4
	v_sub_f16_e32 v4, v5, v29
	v_add_f16_e32 v5, v28, v20
	v_pack_b32_f16 v0, v0, v6
	v_pack_b32_f16 v6, v7, v21
	;; [unrolled: 1-line block ×6, first 2 shown]
	global_store_dword v[8:9], v0, off
	global_store_dword v[10:11], v6, off
	;; [unrolled: 1-line block ×6, first 2 shown]
.LBB0_20:
	s_endpgm
	.section	.rodata,"a",@progbits
	.p2align	6, 0x0
	.amdhsa_kernel fft_rtc_back_len945_factors_3_3_3_5_7_wgs_63_tpt_63_halfLds_half_ip_CI_sbrr_dirReg
		.amdhsa_group_segment_fixed_size 0
		.amdhsa_private_segment_fixed_size 0
		.amdhsa_kernarg_size 88
		.amdhsa_user_sgpr_count 6
		.amdhsa_user_sgpr_private_segment_buffer 1
		.amdhsa_user_sgpr_dispatch_ptr 0
		.amdhsa_user_sgpr_queue_ptr 0
		.amdhsa_user_sgpr_kernarg_segment_ptr 1
		.amdhsa_user_sgpr_dispatch_id 0
		.amdhsa_user_sgpr_flat_scratch_init 0
		.amdhsa_user_sgpr_private_segment_size 0
		.amdhsa_wavefront_size32 1
		.amdhsa_uses_dynamic_stack 0
		.amdhsa_system_sgpr_private_segment_wavefront_offset 0
		.amdhsa_system_sgpr_workgroup_id_x 1
		.amdhsa_system_sgpr_workgroup_id_y 0
		.amdhsa_system_sgpr_workgroup_id_z 0
		.amdhsa_system_sgpr_workgroup_info 0
		.amdhsa_system_vgpr_workitem_id 0
		.amdhsa_next_free_vgpr 104
		.amdhsa_next_free_sgpr 23
		.amdhsa_reserve_vcc 1
		.amdhsa_reserve_flat_scratch 0
		.amdhsa_float_round_mode_32 0
		.amdhsa_float_round_mode_16_64 0
		.amdhsa_float_denorm_mode_32 3
		.amdhsa_float_denorm_mode_16_64 3
		.amdhsa_dx10_clamp 1
		.amdhsa_ieee_mode 1
		.amdhsa_fp16_overflow 0
		.amdhsa_workgroup_processor_mode 1
		.amdhsa_memory_ordered 1
		.amdhsa_forward_progress 0
		.amdhsa_shared_vgpr_count 0
		.amdhsa_exception_fp_ieee_invalid_op 0
		.amdhsa_exception_fp_denorm_src 0
		.amdhsa_exception_fp_ieee_div_zero 0
		.amdhsa_exception_fp_ieee_overflow 0
		.amdhsa_exception_fp_ieee_underflow 0
		.amdhsa_exception_fp_ieee_inexact 0
		.amdhsa_exception_int_div_zero 0
	.end_amdhsa_kernel
	.text
.Lfunc_end0:
	.size	fft_rtc_back_len945_factors_3_3_3_5_7_wgs_63_tpt_63_halfLds_half_ip_CI_sbrr_dirReg, .Lfunc_end0-fft_rtc_back_len945_factors_3_3_3_5_7_wgs_63_tpt_63_halfLds_half_ip_CI_sbrr_dirReg
                                        ; -- End function
	.section	.AMDGPU.csdata,"",@progbits
; Kernel info:
; codeLenInByte = 12052
; NumSgprs: 25
; NumVgprs: 104
; ScratchSize: 0
; MemoryBound: 0
; FloatMode: 240
; IeeeMode: 1
; LDSByteSize: 0 bytes/workgroup (compile time only)
; SGPRBlocks: 3
; VGPRBlocks: 12
; NumSGPRsForWavesPerEU: 25
; NumVGPRsForWavesPerEU: 104
; Occupancy: 9
; WaveLimiterHint : 1
; COMPUTE_PGM_RSRC2:SCRATCH_EN: 0
; COMPUTE_PGM_RSRC2:USER_SGPR: 6
; COMPUTE_PGM_RSRC2:TRAP_HANDLER: 0
; COMPUTE_PGM_RSRC2:TGID_X_EN: 1
; COMPUTE_PGM_RSRC2:TGID_Y_EN: 0
; COMPUTE_PGM_RSRC2:TGID_Z_EN: 0
; COMPUTE_PGM_RSRC2:TIDIG_COMP_CNT: 0
	.text
	.p2alignl 6, 3214868480
	.fill 48, 4, 3214868480
	.type	__hip_cuid_f3f651dc6718ac7b,@object ; @__hip_cuid_f3f651dc6718ac7b
	.section	.bss,"aw",@nobits
	.globl	__hip_cuid_f3f651dc6718ac7b
__hip_cuid_f3f651dc6718ac7b:
	.byte	0                               ; 0x0
	.size	__hip_cuid_f3f651dc6718ac7b, 1

	.ident	"AMD clang version 19.0.0git (https://github.com/RadeonOpenCompute/llvm-project roc-6.4.0 25133 c7fe45cf4b819c5991fe208aaa96edf142730f1d)"
	.section	".note.GNU-stack","",@progbits
	.addrsig
	.addrsig_sym __hip_cuid_f3f651dc6718ac7b
	.amdgpu_metadata
---
amdhsa.kernels:
  - .args:
      - .actual_access:  read_only
        .address_space:  global
        .offset:         0
        .size:           8
        .value_kind:     global_buffer
      - .offset:         8
        .size:           8
        .value_kind:     by_value
      - .actual_access:  read_only
        .address_space:  global
        .offset:         16
        .size:           8
        .value_kind:     global_buffer
      - .actual_access:  read_only
        .address_space:  global
        .offset:         24
        .size:           8
        .value_kind:     global_buffer
      - .offset:         32
        .size:           8
        .value_kind:     by_value
      - .actual_access:  read_only
        .address_space:  global
        .offset:         40
        .size:           8
        .value_kind:     global_buffer
      - .actual_access:  read_only
        .address_space:  global
        .offset:         48
        .size:           8
        .value_kind:     global_buffer
      - .offset:         56
        .size:           4
        .value_kind:     by_value
      - .actual_access:  read_only
        .address_space:  global
        .offset:         64
        .size:           8
        .value_kind:     global_buffer
      - .actual_access:  read_only
        .address_space:  global
        .offset:         72
        .size:           8
        .value_kind:     global_buffer
      - .address_space:  global
        .offset:         80
        .size:           8
        .value_kind:     global_buffer
    .group_segment_fixed_size: 0
    .kernarg_segment_align: 8
    .kernarg_segment_size: 88
    .language:       OpenCL C
    .language_version:
      - 2
      - 0
    .max_flat_workgroup_size: 63
    .name:           fft_rtc_back_len945_factors_3_3_3_5_7_wgs_63_tpt_63_halfLds_half_ip_CI_sbrr_dirReg
    .private_segment_fixed_size: 0
    .sgpr_count:     25
    .sgpr_spill_count: 0
    .symbol:         fft_rtc_back_len945_factors_3_3_3_5_7_wgs_63_tpt_63_halfLds_half_ip_CI_sbrr_dirReg.kd
    .uniform_work_group_size: 1
    .uses_dynamic_stack: false
    .vgpr_count:     104
    .vgpr_spill_count: 0
    .wavefront_size: 32
    .workgroup_processor_mode: 1
amdhsa.target:   amdgcn-amd-amdhsa--gfx1030
amdhsa.version:
  - 1
  - 2
...

	.end_amdgpu_metadata
